;; amdgpu-corpus repo=ROCm/rocFFT kind=compiled arch=gfx906 opt=O3
	.text
	.amdgcn_target "amdgcn-amd-amdhsa--gfx906"
	.amdhsa_code_object_version 6
	.protected	bluestein_single_back_len2048_dim1_half_op_CI_CI ; -- Begin function bluestein_single_back_len2048_dim1_half_op_CI_CI
	.globl	bluestein_single_back_len2048_dim1_half_op_CI_CI
	.p2align	8
	.type	bluestein_single_back_len2048_dim1_half_op_CI_CI,@function
bluestein_single_back_len2048_dim1_half_op_CI_CI: ; @bluestein_single_back_len2048_dim1_half_op_CI_CI
; %bb.0:
	s_load_dwordx4 s[0:3], s[4:5], 0x28
	s_mov_b32 s7, 0
	s_waitcnt lgkmcnt(0)
	v_mov_b32_e32 v1, s0
	v_mov_b32_e32 v2, s1
	v_cmp_lt_u64_e32 vcc, s[6:7], v[1:2]
	s_and_saveexec_b64 s[0:1], vcc
	s_cbranch_execz .LBB0_23
; %bb.1:
	s_load_dwordx2 s[12:13], s[4:5], 0x0
	s_load_dwordx2 s[14:15], s[4:5], 0x38
	v_mov_b32_e32 v25, s7
	s_movk_i32 s0, 0x80
	v_mov_b32_e32 v24, s6
	v_cmp_gt_u32_e32 vcc, s0, v0
	v_lshlrev_b32_e32 v39, 2, v0
	s_and_saveexec_b64 s[6:7], vcc
	s_cbranch_execz .LBB0_3
; %bb.2:
	s_load_dwordx2 s[0:1], s[4:5], 0x18
	v_or_b32_e32 v10, 0x80, v0
	v_mov_b32_e32 v9, s3
	v_or_b32_e32 v11, 0x280, v0
	v_or_b32_e32 v13, 0x380, v0
	s_waitcnt lgkmcnt(0)
	s_load_dwordx4 s[8:11], s[0:1], 0x0
	v_or_b32_e32 v18, 0x780, v0
	v_or_b32_e32 v31, 0x480, v0
	;; [unrolled: 1-line block ×4, first 2 shown]
	s_waitcnt lgkmcnt(0)
	v_mad_u64_u32 v[1:2], s[0:1], s10, v24, 0
	v_mad_u64_u32 v[3:4], s[0:1], s8, v0, 0
	;; [unrolled: 1-line block ×5, first 2 shown]
	v_mov_b32_e32 v2, v5
	v_lshlrev_b64 v[1:2], 2, v[1:2]
	v_mov_b32_e32 v4, v6
	v_add_co_u32_e64 v19, s[0:1], s2, v1
	v_addc_co_u32_e64 v20, s[0:1], v9, v2, s[0:1]
	v_lshlrev_b64 v[1:2], 2, v[3:4]
	v_mov_b32_e32 v3, v8
	v_mad_u64_u32 v[3:4], s[0:1], s9, v10, v[3:4]
	v_or_b32_e32 v9, 0x180, v0
	v_mad_u64_u32 v[4:5], s[0:1], s8, v9, 0
	v_add_co_u32_e64 v1, s[0:1], v19, v1
	v_mov_b32_e32 v8, v3
	v_mov_b32_e32 v3, v5
	v_addc_co_u32_e64 v2, s[0:1], v20, v2, s[0:1]
	v_lshlrev_b64 v[6:7], 2, v[7:8]
	v_mad_u64_u32 v[8:9], s[0:1], s9, v9, v[3:4]
	v_mad_u64_u32 v[9:10], s[0:1], s8, v11, 0
	v_mov_b32_e32 v5, v8
	v_add_co_u32_e64 v6, s[0:1], v19, v6
	v_lshlrev_b64 v[3:4], 2, v[4:5]
	v_mov_b32_e32 v5, v10
	v_addc_co_u32_e64 v7, s[0:1], v20, v7, s[0:1]
	v_mad_u64_u32 v[10:11], s[0:1], s9, v11, v[5:6]
	v_mad_u64_u32 v[11:12], s[0:1], s8, v13, 0
	v_add_co_u32_e64 v3, s[0:1], v19, v3
	v_mov_b32_e32 v5, v12
	v_addc_co_u32_e64 v4, s[0:1], v20, v4, s[0:1]
	v_mad_u64_u32 v[12:13], s[0:1], s9, v13, v[5:6]
	global_load_dword v21, v[1:2], off
	v_lshlrev_b32_e32 v5, 2, v18
	global_load_dword v22, v39, s[12:13] offset:1024
	global_load_dword v23, v39, s[12:13] offset:1536
	;; [unrolled: 1-line block ×5, first 2 shown]
	global_load_dword v28, v5, s[12:13]
	global_load_dword v29, v39, s[12:13] offset:512
	global_load_dword v30, v39, s[12:13]
	global_load_dword v32, v[6:7], off
	v_mad_u64_u32 v[13:14], s[0:1], s8, v31, 0
	v_lshlrev_b64 v[8:9], 2, v[9:10]
	v_lshlrev_b64 v[10:11], 2, v[11:12]
	v_add_co_u32_e64 v8, s[0:1], v19, v8
	v_mov_b32_e32 v5, v14
	v_addc_co_u32_e64 v9, s[0:1], v20, v9, s[0:1]
	v_mad_u64_u32 v[5:6], s[0:1], s9, v31, v[5:6]
	v_mad_u64_u32 v[6:7], s[0:1], s8, v33, 0
	v_add_co_u32_e64 v10, s[0:1], v19, v10
	v_mov_b32_e32 v14, v5
	v_mov_b32_e32 v5, v7
	v_addc_co_u32_e64 v11, s[0:1], v20, v11, s[0:1]
	v_lshlrev_b64 v[12:13], 2, v[13:14]
	v_mad_u64_u32 v[14:15], s[0:1], s9, v33, v[5:6]
	v_add_co_u32_e64 v12, s[0:1], v19, v12
	v_addc_co_u32_e64 v13, s[0:1], v20, v13, s[0:1]
	v_mov_b32_e32 v7, v14
	v_mad_u64_u32 v[14:15], s[0:1], s8, v34, 0
	s_lshl_b64 s[2:3], s[8:9], 10
	v_mov_b32_e32 v35, s3
	v_add_co_u32_e64 v1, s[0:1], s2, v1
	v_lshlrev_b64 v[5:6], 2, v[6:7]
	v_mov_b32_e32 v7, v15
	v_addc_co_u32_e64 v2, s[0:1], v2, v35, s[0:1]
	v_mad_u64_u32 v[15:16], s[0:1], s9, v34, v[7:8]
	v_mad_u64_u32 v[16:17], s[0:1], s8, v18, 0
	v_add_co_u32_e64 v5, s[0:1], v19, v5
	v_mov_b32_e32 v7, v17
	v_addc_co_u32_e64 v6, s[0:1], v20, v6, s[0:1]
	v_mad_u64_u32 v[17:18], s[0:1], s9, v18, v[7:8]
	global_load_dword v36, v[1:2], off
	global_load_dword v18, v[3:4], off
	v_add_co_u32_e64 v1, s[0:1], s2, v1
	v_addc_co_u32_e64 v2, s[0:1], v2, v35, s[0:1]
	global_load_dword v37, v[1:2], off
	v_lshlrev_b64 v[14:15], 2, v[14:15]
	global_load_dword v9, v[8:9], off
	v_add_co_u32_e64 v3, s[0:1], v19, v14
	v_addc_co_u32_e64 v4, s[0:1], v20, v15, s[0:1]
	v_add_co_u32_e64 v1, s[0:1], s2, v1
	v_lshlrev_b64 v[14:15], 2, v[16:17]
	v_addc_co_u32_e64 v2, s[0:1], v2, v35, s[0:1]
	global_load_dword v16, v[10:11], off
	global_load_dword v17, v[1:2], off
	v_add_co_u32_e64 v7, s[0:1], v19, v14
	v_addc_co_u32_e64 v8, s[0:1], v20, v15, s[0:1]
	v_add_co_u32_e64 v1, s[0:1], s2, v1
	v_addc_co_u32_e64 v2, s[0:1], v2, v35, s[0:1]
	global_load_dword v15, v[1:2], off
	s_waitcnt vmcnt(16)
	v_lshrrev_b32_e32 v10, 16, v21
	v_or_b32_e32 v19, 0x1000, v39
	s_waitcnt vmcnt(8)
	v_mul_f16_sdwa v14, v30, v21 dst_sel:DWORD dst_unused:UNUSED_PAD src0_sel:WORD_1 src1_sel:DWORD
	v_mul_f16_sdwa v11, v30, v10 dst_sel:DWORD dst_unused:UNUSED_PAD src0_sel:WORD_1 src1_sel:DWORD
	v_fma_f16 v10, v30, v10, -v14
	global_load_dword v14, v39, s[12:13] offset:3584
	s_waitcnt vmcnt(8)
	v_lshrrev_b32_e32 v20, 16, v32
	v_fma_f16 v11, v30, v21, v11
	global_load_dword v19, v19, s[12:13]
	v_mul_f16_sdwa v21, v29, v20 dst_sel:DWORD dst_unused:UNUSED_PAD src0_sel:WORD_1 src1_sel:DWORD
	v_fma_f16 v21, v29, v32, v21
	v_mul_f16_sdwa v32, v29, v32 dst_sel:DWORD dst_unused:UNUSED_PAD src0_sel:WORD_1 src1_sel:DWORD
	global_load_dword v12, v[12:13], off
	v_fma_f16 v20, v29, v20, -v32
	global_load_dword v7, v[7:8], off
	v_lshlrev_b32_e32 v13, 2, v31
	v_or_b32_e32 v31, 0x1400, v39
	global_load_dword v5, v[5:6], off
	v_or_b32_e32 v29, 0x1800, v39
	global_load_dword v31, v31, s[12:13]
	v_pack_b32_f16 v10, v11, v10
	global_load_dword v29, v29, s[12:13]
	v_pack_b32_f16 v20, v21, v20
	global_load_dword v13, v13, s[12:13]
	ds_write2st64_b32 v39, v10, v20 offset1:2
	global_load_dword v3, v[3:4], off
	v_add_co_u32_e64 v1, s[0:1], s2, v1
	v_addc_co_u32_e64 v2, s[0:1], v2, v35, s[0:1]
	global_load_dword v30, v[1:2], off
	v_lshlrev_b32_e32 v6, 2, v33
	global_load_dword v6, v6, s[12:13]
	v_add_co_u32_e64 v1, s[0:1], s2, v1
	v_addc_co_u32_e64 v2, s[0:1], v2, v35, s[0:1]
	global_load_dword v11, v[1:2], off
	v_lshlrev_b32_e32 v4, 2, v34
	global_load_dword v4, v4, s[12:13]
	v_add_co_u32_e64 v1, s[0:1], s2, v1
	v_addc_co_u32_e64 v2, s[0:1], v2, v35, s[0:1]
	global_load_dword v1, v[1:2], off
	v_or_b32_e32 v2, 0x1c00, v39
	global_load_dword v2, v2, s[12:13]
	s_waitcnt vmcnt(21)
	v_lshrrev_b32_e32 v10, 16, v36
	v_mul_f16_sdwa v21, v22, v36 dst_sel:DWORD dst_unused:UNUSED_PAD src0_sel:WORD_1 src1_sel:DWORD
	s_waitcnt vmcnt(20)
	v_lshrrev_b32_e32 v8, 16, v18
	v_mul_f16_sdwa v20, v22, v10 dst_sel:DWORD dst_unused:UNUSED_PAD src0_sel:WORD_1 src1_sel:DWORD
	v_fma_f16 v10, v22, v10, -v21
	v_mul_f16_sdwa v21, v23, v8 dst_sel:DWORD dst_unused:UNUSED_PAD src0_sel:WORD_1 src1_sel:DWORD
	v_fma_f16 v21, v23, v18, v21
	v_mul_f16_sdwa v18, v23, v18 dst_sel:DWORD dst_unused:UNUSED_PAD src0_sel:WORD_1 src1_sel:DWORD
	v_fma_f16 v20, v22, v36, v20
	v_fma_f16 v8, v23, v8, -v18
	v_pack_b32_f16 v10, v20, v10
	v_pack_b32_f16 v8, v21, v8
	ds_write2st64_b32 v39, v10, v8 offset0:4 offset1:6
	s_waitcnt vmcnt(19)
	v_lshrrev_b32_e32 v8, 16, v37
	v_mul_f16_sdwa v18, v25, v37 dst_sel:DWORD dst_unused:UNUSED_PAD src0_sel:WORD_1 src1_sel:DWORD
	v_mul_f16_sdwa v10, v25, v8 dst_sel:DWORD dst_unused:UNUSED_PAD src0_sel:WORD_1 src1_sel:DWORD
	v_fma_f16 v8, v25, v8, -v18
	s_waitcnt vmcnt(18)
	v_lshrrev_b32_e32 v18, 16, v9
	v_mul_f16_sdwa v20, v26, v18 dst_sel:DWORD dst_unused:UNUSED_PAD src0_sel:WORD_1 src1_sel:DWORD
	v_fma_f16 v20, v26, v9, v20
	v_mul_f16_sdwa v9, v26, v9 dst_sel:DWORD dst_unused:UNUSED_PAD src0_sel:WORD_1 src1_sel:DWORD
	v_fma_f16 v10, v25, v37, v10
	v_fma_f16 v9, v26, v18, -v9
	v_pack_b32_f16 v8, v10, v8
	v_pack_b32_f16 v9, v20, v9
	ds_write2st64_b32 v39, v8, v9 offset0:8 offset1:10
	s_waitcnt vmcnt(16)
	v_lshrrev_b32_e32 v8, 16, v17
	v_mul_f16_sdwa v9, v27, v8 dst_sel:DWORD dst_unused:UNUSED_PAD src0_sel:WORD_1 src1_sel:DWORD
	v_mul_f16_sdwa v10, v27, v17 dst_sel:DWORD dst_unused:UNUSED_PAD src0_sel:WORD_1 src1_sel:DWORD
	v_fma_f16 v9, v27, v17, v9
	v_fma_f16 v8, v27, v8, -v10
	v_pack_b32_f16 v8, v9, v8
	v_lshrrev_b32_e32 v9, 16, v16
	s_waitcnt vmcnt(14)
	v_mul_f16_sdwa v10, v14, v9 dst_sel:DWORD dst_unused:UNUSED_PAD src0_sel:WORD_1 src1_sel:DWORD
	v_fma_f16 v10, v14, v16, v10
	v_mul_f16_sdwa v16, v14, v16 dst_sel:DWORD dst_unused:UNUSED_PAD src0_sel:WORD_1 src1_sel:DWORD
	v_fma_f16 v9, v14, v9, -v16
	v_pack_b32_f16 v9, v10, v9
	ds_write2st64_b32 v39, v8, v9 offset0:12 offset1:14
	v_lshrrev_b32_e32 v8, 16, v15
	s_waitcnt vmcnt(13)
	v_mul_f16_sdwa v9, v19, v8 dst_sel:DWORD dst_unused:UNUSED_PAD src0_sel:WORD_1 src1_sel:DWORD
	v_mul_f16_sdwa v10, v19, v15 dst_sel:DWORD dst_unused:UNUSED_PAD src0_sel:WORD_1 src1_sel:DWORD
	v_fma_f16 v9, v19, v15, v9
	v_fma_f16 v8, v19, v8, -v10
	v_pack_b32_f16 v8, v9, v8
	s_waitcnt vmcnt(12)
	v_lshrrev_b32_e32 v9, 16, v12
	s_waitcnt vmcnt(7)
	v_mul_f16_sdwa v10, v13, v9 dst_sel:DWORD dst_unused:UNUSED_PAD src0_sel:WORD_1 src1_sel:DWORD
	v_fma_f16 v10, v13, v12, v10
	v_mul_f16_sdwa v12, v13, v12 dst_sel:DWORD dst_unused:UNUSED_PAD src0_sel:WORD_1 src1_sel:DWORD
	v_fma_f16 v9, v13, v9, -v12
	v_pack_b32_f16 v9, v10, v9
	ds_write2st64_b32 v39, v8, v9 offset0:16 offset1:18
	s_waitcnt vmcnt(5)
	v_lshrrev_b32_e32 v8, 16, v30
	v_mul_f16_sdwa v9, v31, v8 dst_sel:DWORD dst_unused:UNUSED_PAD src0_sel:WORD_1 src1_sel:DWORD
	v_mul_f16_sdwa v10, v31, v30 dst_sel:DWORD dst_unused:UNUSED_PAD src0_sel:WORD_1 src1_sel:DWORD
	v_fma_f16 v9, v31, v30, v9
	v_fma_f16 v8, v31, v8, -v10
	v_pack_b32_f16 v8, v9, v8
	v_lshrrev_b32_e32 v9, 16, v5
	s_waitcnt vmcnt(4)
	v_mul_f16_sdwa v10, v6, v9 dst_sel:DWORD dst_unused:UNUSED_PAD src0_sel:WORD_1 src1_sel:DWORD
	v_fma_f16 v10, v6, v5, v10
	v_mul_f16_sdwa v5, v6, v5 dst_sel:DWORD dst_unused:UNUSED_PAD src0_sel:WORD_1 src1_sel:DWORD
	v_fma_f16 v5, v6, v9, -v5
	v_pack_b32_f16 v5, v10, v5
	ds_write2st64_b32 v39, v8, v5 offset0:20 offset1:22
	s_waitcnt vmcnt(3)
	v_lshrrev_b32_e32 v5, 16, v11
	v_mul_f16_sdwa v6, v29, v5 dst_sel:DWORD dst_unused:UNUSED_PAD src0_sel:WORD_1 src1_sel:DWORD
	v_mul_f16_sdwa v8, v29, v11 dst_sel:DWORD dst_unused:UNUSED_PAD src0_sel:WORD_1 src1_sel:DWORD
	v_fma_f16 v6, v29, v11, v6
	v_fma_f16 v5, v29, v5, -v8
	v_pack_b32_f16 v5, v6, v5
	v_lshrrev_b32_e32 v6, 16, v3
	s_waitcnt vmcnt(2)
	v_mul_f16_sdwa v8, v4, v6 dst_sel:DWORD dst_unused:UNUSED_PAD src0_sel:WORD_1 src1_sel:DWORD
	v_fma_f16 v8, v4, v3, v8
	v_mul_f16_sdwa v3, v4, v3 dst_sel:DWORD dst_unused:UNUSED_PAD src0_sel:WORD_1 src1_sel:DWORD
	v_fma_f16 v3, v4, v6, -v3
	v_pack_b32_f16 v3, v8, v3
	ds_write2st64_b32 v39, v5, v3 offset0:24 offset1:26
	s_waitcnt vmcnt(1)
	v_lshrrev_b32_e32 v3, 16, v1
	s_waitcnt vmcnt(0)
	v_mul_f16_sdwa v4, v2, v3 dst_sel:DWORD dst_unused:UNUSED_PAD src0_sel:WORD_1 src1_sel:DWORD
	v_fma_f16 v4, v2, v1, v4
	v_mul_f16_sdwa v1, v2, v1 dst_sel:DWORD dst_unused:UNUSED_PAD src0_sel:WORD_1 src1_sel:DWORD
	v_fma_f16 v1, v2, v3, -v1
	v_lshrrev_b32_e32 v2, 16, v7
	v_pack_b32_f16 v1, v4, v1
	v_mul_f16_sdwa v3, v28, v2 dst_sel:DWORD dst_unused:UNUSED_PAD src0_sel:WORD_1 src1_sel:DWORD
	v_mul_f16_sdwa v4, v28, v7 dst_sel:DWORD dst_unused:UNUSED_PAD src0_sel:WORD_1 src1_sel:DWORD
	v_fma_f16 v3, v28, v7, v3
	v_fma_f16 v2, v28, v2, -v4
	v_pack_b32_f16 v2, v3, v2
	ds_write2st64_b32 v39, v1, v2 offset0:28 offset1:30
.LBB0_3:
	s_or_b64 exec, exec, s[6:7]
	s_waitcnt lgkmcnt(0)
	s_barrier
	s_waitcnt lgkmcnt(0)
                                        ; implicit-def: $vgpr1
                                        ; implicit-def: $vgpr9
                                        ; implicit-def: $vgpr5
                                        ; implicit-def: $vgpr13
                                        ; implicit-def: $vgpr3
                                        ; implicit-def: $vgpr11
                                        ; implicit-def: $vgpr7
                                        ; implicit-def: $vgpr15
                                        ; implicit-def: $vgpr16
	s_and_saveexec_b64 s[0:1], vcc
	s_cbranch_execz .LBB0_5
; %bb.4:
	v_or_b32_e32 v15, 0xe00, v39
	v_or_b32_e32 v16, 0x1e00, v39
	ds_read2st64_b32 v[1:2], v39 offset1:2
	ds_read2st64_b32 v[3:4], v39 offset0:4 offset1:6
	ds_read2st64_b32 v[5:6], v39 offset0:8 offset1:10
	;; [unrolled: 1-line block ×6, first 2 shown]
	ds_read_b32 v15, v15
	ds_read_b32 v16, v16
.LBB0_5:
	s_or_b64 exec, exec, s[0:1]
	s_waitcnt lgkmcnt(4)
	v_pk_add_f16 v9, v1, v9 neg_lo:[0,1] neg_hi:[0,1]
	s_waitcnt lgkmcnt(2)
	v_pk_add_f16 v13, v5, v13 neg_lo:[0,1] neg_hi:[0,1]
	v_pk_add_f16 v11, v3, v11 neg_lo:[0,1] neg_hi:[0,1]
	;; [unrolled: 1-line block ×3, first 2 shown]
	v_sub_f16_sdwa v17, v9, v13 dst_sel:DWORD dst_unused:UNUSED_PAD src0_sel:DWORD src1_sel:WORD_1
	v_lshrrev_b32_e32 v18, 16, v9
	v_sub_f16_sdwa v21, v11, v8 dst_sel:DWORD dst_unused:UNUSED_PAD src0_sel:DWORD src1_sel:WORD_1
	v_lshrrev_b32_e32 v22, 16, v11
	v_add_f16_e32 v19, v13, v18
	v_fma_f16 v20, v9, 2.0, -v17
	v_add_f16_e32 v23, v8, v22
	v_fma_f16 v25, v11, 2.0, -v21
	s_mov_b32 s0, 0xb9a8
	v_fma_f16 v18, v18, 2.0, -v19
	v_fma_f16 v22, v22, 2.0, -v23
	v_fma_f16 v32, v25, s0, v20
	v_fma_f16 v32, v22, s0, v32
	v_fma_f16 v22, v22, s0, v18
	s_movk_i32 s1, 0x39a8
	v_pk_add_f16 v10, v2, v10 neg_lo:[0,1] neg_hi:[0,1]
	v_pk_add_f16 v14, v6, v14 neg_lo:[0,1] neg_hi:[0,1]
	;; [unrolled: 1-line block ×3, first 2 shown]
	s_waitcnt lgkmcnt(0)
	v_pk_add_f16 v16, v15, v16 neg_lo:[0,1] neg_hi:[0,1]
	v_fma_f16 v33, v25, s1, v22
	v_fma_f16 v22, v21, s1, v17
	v_sub_f16_sdwa v26, v10, v14 dst_sel:DWORD dst_unused:UNUSED_PAD src0_sel:DWORD src1_sel:WORD_1
	v_lshrrev_b32_e32 v27, 16, v10
	v_sub_f16_sdwa v30, v12, v16 dst_sel:DWORD dst_unused:UNUSED_PAD src0_sel:DWORD src1_sel:WORD_1
	v_lshrrev_b32_e32 v31, 16, v12
	v_fma_f16 v34, v23, s0, v22
	v_fma_f16 v22, v23, s1, v19
	v_add_f16_e32 v28, v14, v27
	v_fma_f16 v29, v10, 2.0, -v26
	v_pk_fma_f16 v7, v7, 2.0, v8 op_sel_hi:[1,0,1] neg_lo:[0,0,1] neg_hi:[0,0,1]
	v_add_f16_e32 v8, v16, v31
	v_fma_f16 v40, v21, s1, v22
	v_fma_f16 v21, v12, 2.0, -v30
	v_fma_f16 v27, v27, 2.0, -v28
	;; [unrolled: 1-line block ×3, first 2 shown]
	v_fma_f16 v23, v21, s0, v29
	v_pk_fma_f16 v1, v1, 2.0, v9 op_sel_hi:[1,0,1] neg_lo:[0,0,1] neg_hi:[0,0,1]
	v_pk_fma_f16 v5, v5, 2.0, v13 op_sel_hi:[1,0,1] neg_lo:[0,0,1] neg_hi:[0,0,1]
	;; [unrolled: 1-line block ×7, first 2 shown]
	v_fma_f16 v31, v22, s0, v23
	v_fma_f16 v22, v22, s0, v27
	v_pk_add_f16 v5, v1, v5 neg_lo:[0,1] neg_hi:[0,1]
	v_pk_add_f16 v7, v3, v7 neg_lo:[0,1] neg_hi:[0,1]
	;; [unrolled: 1-line block ×4, first 2 shown]
	v_fma_f16 v41, v21, s1, v22
	v_fma_f16 v21, v30, s1, v26
	v_fma_f16 v20, v20, 2.0, -v32
	v_fma_f16 v22, v29, 2.0, -v31
	v_sub_f16_sdwa v10, v5, v7 dst_sel:DWORD dst_unused:UNUSED_PAD src0_sel:DWORD src1_sel:WORD_1
	v_sub_f16_sdwa v12, v6, v9 dst_sel:DWORD dst_unused:UNUSED_PAD src0_sel:DWORD src1_sel:WORD_1
	v_lshrrev_b32_e32 v13, 16, v6
	s_mov_b32 s2, 0xbb64
	v_fma_f16 v44, v8, s0, v21
	v_fma_f16 v8, v8, s1, v28
	v_fma_f16 v18, v18, 2.0, -v33
	v_fma_f16 v21, v27, 2.0, -v41
	v_pk_fma_f16 v1, v1, 2.0, v5 op_sel_hi:[1,0,1] neg_lo:[0,0,1] neg_hi:[0,0,1]
	v_pk_fma_f16 v2, v2, 2.0, v6 op_sel_hi:[1,0,1] neg_lo:[0,0,1] neg_hi:[0,0,1]
	v_pk_fma_f16 v4, v4, 2.0, v9 op_sel_hi:[1,0,1] neg_lo:[0,0,1] neg_hi:[0,0,1]
	v_lshrrev_b32_e32 v11, 16, v5
	v_fma_f16 v5, v5, 2.0, -v10
	v_add_f16_e32 v9, v9, v13
	v_fma_f16 v6, v6, 2.0, -v12
	v_fma_f16 v14, v22, s2, v20
	s_mov_b32 s3, 0xb61f
	v_fma_f16 v8, v30, s1, v8
	v_fma_f16 v13, v13, 2.0, -v9
	v_fma_f16 v15, v21, s2, v18
	v_fma_f16 v21, v21, s3, v14
	;; [unrolled: 1-line block ×3, first 2 shown]
	v_fma_f16 v19, v19, 2.0, -v40
	v_fma_f16 v27, v28, 2.0, -v8
	s_movk_i32 s8, 0x361f
	v_fma_f16 v25, v13, s0, v14
	v_fma_f16 v23, v26, 2.0, -v44
	v_fma_f16 v38, v22, s8, v15
	v_fma_f16 v22, v5, 2.0, -v25
	v_fma_f16 v5, v27, s3, v19
	s_movk_i32 s9, 0x3b64
	v_fma_f16 v43, v23, s9, v5
	v_fma_f16 v5, v31, s8, v32
	v_pk_fma_f16 v3, v3, 2.0, v7 op_sel_hi:[1,0,1] neg_lo:[0,0,1] neg_hi:[0,0,1]
	v_add_f16_e32 v7, v7, v11
	v_fma_f16 v30, v41, s2, v5
	v_fma_f16 v5, v41, s8, v33
	v_fma_f16 v11, v11, 2.0, -v7
	v_fma_f16 v47, v31, s9, v5
	v_fma_f16 v5, v9, s1, v7
	s_load_dwordx2 s[6:7], s[4:5], 0x8
	v_fma_f16 v17, v17, 2.0, -v34
	v_pk_add_f16 v3, v1, v3 neg_lo:[0,1] neg_hi:[0,1]
	v_pk_add_f16 v4, v2, v4 neg_lo:[0,1] neg_hi:[0,1]
	v_fma_f16 v15, v13, s0, v11
	v_fma_f16 v49, v12, s1, v5
	v_fma_f16 v5, v12, s1, v10
	v_fma_f16 v42, v6, s1, v15
	v_fma_f16 v6, v23, s3, v17
	v_sub_f16_sdwa v29, v3, v4 dst_sel:DWORD dst_unused:UNUSED_PAD src0_sel:DWORD src1_sel:WORD_1
	v_fma_f16 v28, v9, s0, v5
	v_fma_f16 v5, v44, s9, v34
	v_pk_fma_f16 v1, v1, 2.0, v3 op_sel_hi:[1,0,1] neg_lo:[0,0,1] neg_hi:[0,0,1]
	v_pk_fma_f16 v2, v2, 2.0, v4 op_sel_hi:[1,0,1] neg_lo:[0,0,1] neg_hi:[0,0,1]
	v_fma_f16 v26, v27, s2, v6
	v_fma_f16 v48, v8, s3, v5
	;; [unrolled: 1-line block ×3, first 2 shown]
	v_fma_f16 v31, v3, 2.0, -v29
	v_lshrrev_b32_e32 v3, 16, v3
	v_fma_f16 v23, v17, 2.0, -v26
	v_fma_f16 v51, v44, s8, v5
	v_add_f16_e32 v52, v4, v3
	v_pk_add_f16 v17, v1, v2 neg_lo:[0,1] neg_hi:[0,1]
	v_fma_f16 v35, v18, 2.0, -v38
	v_fma_f16 v36, v11, 2.0, -v42
	;; [unrolled: 1-line block ×11, first 2 shown]
	v_lshlrev_b32_e32 v41, 6, v0
	v_pk_fma_f16 v13, v1, 2.0, v17 op_sel_hi:[1,0,1] neg_lo:[0,0,1] neg_hi:[0,0,1]
	s_waitcnt lgkmcnt(0)
	s_barrier
	s_and_saveexec_b64 s[0:1], vcc
	s_cbranch_execz .LBB0_7
; %bb.6:
	s_mov_b32 s2, 0x5040100
	v_perm_b32 v4, v53, v50, s2
	v_perm_b32 v3, v46, v27, s2
	;; [unrolled: 1-line block ×4, first 2 shown]
	ds_write_b128 v41, v[1:4] offset:16
	v_perm_b32 v4, v51, v48, s2
	v_perm_b32 v3, v49, v28, s2
	;; [unrolled: 1-line block ×10, first 2 shown]
	ds_write_b128 v41, v[1:4] offset:48
	ds_write_b128 v41, v[13:16]
	ds_write_b128 v41, v[17:20] offset:32
.LBB0_7:
	s_or_b64 exec, exec, s[0:1]
	s_load_dwordx2 s[0:1], s[4:5], 0x20
	s_waitcnt lgkmcnt(0)
	s_barrier
	s_and_saveexec_b64 s[2:3], vcc
	s_cbranch_execz .LBB0_9
; %bb.8:
	v_or_b32_e32 v1, 0xe00, v39
	ds_read2st64_b32 v[33:34], v39 offset1:2
	ds_read2st64_b32 v[22:23], v39 offset0:4 offset1:6
	ds_read2st64_b32 v[31:32], v39 offset0:8 offset1:10
	;; [unrolled: 1-line block ×4, first 2 shown]
	ds_read_b32 v50, v1
	ds_read2st64_b32 v[25:26], v39 offset0:20 offset1:22
	ds_read2st64_b32 v[29:30], v39 offset0:24 offset1:26
	v_or_b32_e32 v1, 0x1e00, v39
	ds_read_b32 v48, v1
	s_waitcnt lgkmcnt(8)
	v_lshrrev_b32_e32 v35, 16, v34
	s_waitcnt lgkmcnt(7)
	v_lshrrev_b32_e32 v36, 16, v22
	v_lshrrev_b32_e32 v37, 16, v23
	s_waitcnt lgkmcnt(6)
	v_lshrrev_b32_e32 v45, 16, v31
	;; [unrolled: 3-line block ×3, first 2 shown]
	s_waitcnt lgkmcnt(3)
	v_lshrrev_b32_e32 v53, 16, v50
	v_lshrrev_b32_e32 v38, 16, v21
	s_waitcnt lgkmcnt(2)
	v_lshrrev_b32_e32 v42, 16, v25
	v_lshrrev_b32_e32 v43, 16, v26
	;; [unrolled: 3-line block ×3, first 2 shown]
	v_lshrrev_b32_e32 v49, 16, v28
	s_waitcnt lgkmcnt(0)
	v_lshrrev_b32_e32 v51, 16, v48
	v_mov_b32_e32 v17, v20
	v_mov_b32_e32 v13, v33
.LBB0_9:
	s_or_b64 exec, exec, s[2:3]
	v_and_b32_e32 v40, 15, v0
	v_mad_u64_u32 v[14:15], s[2:3], v40, 60, s[6:7]
	s_mov_b32 s4, 0xb9a8
	s_movk_i32 s5, 0x39a8
	global_load_dwordx4 v[1:4], v[14:15], off
	global_load_dwordx4 v[5:8], v[14:15], off offset:16
	global_load_dwordx4 v[9:12], v[14:15], off offset:32
	global_load_dwordx3 v[18:20], v[14:15], off offset:48
	v_lshrrev_b32_e32 v14, 16, v17
	v_lshrrev_b32_e32 v15, 16, v13
	s_mov_b32 s2, 0xbb64
	s_mov_b32 s3, 0xb61f
	s_waitcnt vmcnt(0)
	s_barrier
	v_mul_f16_sdwa v33, v34, v1 dst_sel:DWORD dst_unused:UNUSED_PAD src0_sel:DWORD src1_sel:WORD_1
	v_mul_f16_sdwa v56, v37, v3 dst_sel:DWORD dst_unused:UNUSED_PAD src0_sel:DWORD src1_sel:WORD_1
	;; [unrolled: 1-line block ×10, first 2 shown]
	v_fma_f16 v23, v23, v3, -v56
	v_mul_f16_sdwa v56, v49, v19 dst_sel:DWORD dst_unused:UNUSED_PAD src0_sel:DWORD src1_sel:WORD_1
	v_fma_f16 v33, v35, v1, v33
	v_mul_f16_sdwa v35, v28, v19 dst_sel:DWORD dst_unused:UNUSED_PAD src0_sel:DWORD src1_sel:WORD_1
	v_mul_f16_sdwa v58, v45, v4 dst_sel:DWORD dst_unused:UNUSED_PAD src0_sel:DWORD src1_sel:WORD_1
	;; [unrolled: 1-line block ×6, first 2 shown]
	v_fma_f16 v22, v22, v2, -v54
	v_fma_f16 v36, v36, v2, v55
	v_mul_f16_sdwa v55, v51, v20 dst_sel:DWORD dst_unused:UNUSED_PAD src0_sel:DWORD src1_sel:WORD_1
	v_fma_f16 v27, v27, v6, -v62
	v_fma_f16 v46, v46, v6, v63
	v_fma_f16 v25, v25, v10, -v70
	v_fma_f16 v42, v42, v10, v71
	;; [unrolled: 2-line block ×3, first 2 shown]
	v_mul_f16_sdwa v59, v31, v4 dst_sel:DWORD dst_unused:UNUSED_PAD src0_sel:DWORD src1_sel:WORD_1
	v_mul_f16_sdwa v65, v50, v7 dst_sel:DWORD dst_unused:UNUSED_PAD src0_sel:DWORD src1_sel:WORD_1
	v_mul_f16_sdwa v66, v14, v8 dst_sel:DWORD dst_unused:UNUSED_PAD src0_sel:DWORD src1_sel:WORD_1
	v_mul_f16_sdwa v73, v26, v11 dst_sel:DWORD dst_unused:UNUSED_PAD src0_sel:DWORD src1_sel:WORD_1
	v_fma_f16 v16, v34, v1, -v16
	v_mul_f16_sdwa v34, v29, v12 dst_sel:DWORD dst_unused:UNUSED_PAD src0_sel:DWORD src1_sel:WORD_1
	v_fma_f16 v37, v37, v3, v57
	v_mul_f16_sdwa v57, v48, v20 dst_sel:DWORD dst_unused:UNUSED_PAD src0_sel:DWORD src1_sel:WORD_1
	v_fma_f16 v31, v31, v4, -v58
	v_fma_f16 v50, v50, v7, -v64
	v_fma_f16 v14, v14, v8, v67
	v_fma_f16 v26, v26, v11, -v72
	v_fma_f16 v29, v29, v12, -v74
	;; [unrolled: 1-line block ×3, first 2 shown]
	v_sub_f16_e32 v25, v22, v25
	v_sub_f16_e32 v42, v36, v42
	;; [unrolled: 1-line block ×4, first 2 shown]
	v_mul_f16_sdwa v60, v44, v5 dst_sel:DWORD dst_unused:UNUSED_PAD src0_sel:DWORD src1_sel:WORD_1
	v_mul_f16_sdwa v61, v32, v5 dst_sel:DWORD dst_unused:UNUSED_PAD src0_sel:DWORD src1_sel:WORD_1
	;; [unrolled: 1-line block ×5, first 2 shown]
	v_fma_f16 v45, v45, v4, v59
	v_fma_f16 v53, v53, v7, v65
	v_fma_f16 v17, v17, v8, -v66
	v_fma_f16 v34, v52, v12, v34
	v_fma_f16 v49, v51, v20, v57
	v_sub_f16_e32 v14, v15, v14
	v_sub_f16_e32 v29, v31, v29
	v_fma_f16 v22, v22, 2.0, -v25
	v_fma_f16 v36, v36, 2.0, -v42
	;; [unrolled: 1-line block ×4, first 2 shown]
	v_sub_f16_e32 v26, v23, v26
	v_sub_f16_e32 v48, v50, v48
	v_mul_f16_sdwa v69, v21, v9 dst_sel:DWORD dst_unused:UNUSED_PAD src0_sel:DWORD src1_sel:WORD_1
	v_fma_f16 v32, v32, v5, -v60
	v_fma_f16 v44, v44, v5, v61
	v_fma_f16 v21, v21, v9, -v68
	v_fma_f16 v30, v30, v18, -v75
	v_fma_f16 v47, v47, v18, v54
	v_sub_f16_e32 v17, v13, v17
	v_sub_f16_e32 v34, v45, v34
	v_fma_f16 v31, v31, 2.0, -v29
	v_fma_f16 v23, v23, 2.0, -v26
	v_sub_f16_e32 v49, v53, v49
	v_fma_f16 v50, v50, 2.0, -v48
	v_add_f16_e32 v29, v14, v29
	v_sub_f16_e32 v27, v22, v27
	v_sub_f16_e32 v46, v36, v46
	v_add_f16_e32 v28, v42, v28
	v_sub_f16_e32 v21, v16, v21
	v_fma_f16 v15, v15, 2.0, -v14
	v_fma_f16 v45, v45, 2.0, -v34
	v_sub_f16_e32 v30, v32, v30
	v_sub_f16_e32 v47, v44, v47
	v_fma_f16 v51, v53, 2.0, -v49
	v_sub_f16_e32 v53, v17, v34
	v_fma_f16 v34, v14, 2.0, -v29
	v_fma_f16 v14, v22, 2.0, -v27
	;; [unrolled: 1-line block ×3, first 2 shown]
	v_sub_f16_e32 v36, v25, v35
	v_fma_f16 v35, v42, 2.0, -v28
	v_sub_f16_e32 v50, v23, v50
	v_fma_f16 v38, v38, v9, v69
	v_fma_f16 v43, v43, v11, v73
	v_fma_f16 v13, v13, 2.0, -v17
	v_fma_f16 v16, v16, 2.0, -v21
	;; [unrolled: 1-line block ×4, first 2 shown]
	v_sub_f16_e32 v45, v15, v45
	v_fma_f16 v17, v17, 2.0, -v53
	v_fma_f16 v25, v25, 2.0, -v36
	v_sub_f16_e32 v47, v21, v47
	v_fma_f16 v58, v23, 2.0, -v50
	v_fma_f16 v23, v35, s4, v34
	v_sub_f16_e32 v38, v33, v38
	v_sub_f16_e32 v43, v37, v43
	;; [unrolled: 1-line block ×3, first 2 shown]
	v_fma_f16 v52, v15, 2.0, -v45
	v_sub_f16_e32 v32, v16, v32
	v_fma_f16 v56, v21, 2.0, -v47
	v_fma_f16 v21, v25, s4, v17
	v_fma_f16 v23, v25, s5, v23
	v_fma_f16 v33, v33, 2.0, -v38
	v_fma_f16 v37, v37, 2.0, -v43
	;; [unrolled: 1-line block ×3, first 2 shown]
	v_add_f16_e32 v30, v38, v30
	v_add_f16_e32 v48, v43, v48
	v_sub_f16_e32 v16, v52, v22
	v_fma_f16 v22, v35, s4, v21
	v_fma_f16 v21, v34, 2.0, -v23
	v_sub_f16_e32 v34, v31, v46
	v_fma_f16 v13, v13, 2.0, -v31
	v_sub_f16_e32 v44, v33, v44
	;; [unrolled: 2-line block ×3, first 2 shown]
	v_sub_f16_e32 v49, v26, v49
	v_fma_f16 v43, v43, 2.0, -v48
	v_add_f16_e32 v35, v45, v27
	v_fma_f16 v25, v31, 2.0, -v34
	v_fma_f16 v27, v36, s5, v53
	v_fma_f16 v31, v28, s5, v29
	v_fma_f16 v55, v33, 2.0, -v44
	v_fma_f16 v59, v37, 2.0, -v51
	;; [unrolled: 1-line block ×3, first 2 shown]
	v_fma_f16 v38, v28, s4, v27
	v_fma_f16 v42, v36, s5, v31
	;; [unrolled: 1-line block ×3, first 2 shown]
	v_fma_f16 v33, v45, 2.0, -v35
	v_fma_f16 v36, v53, 2.0, -v38
	;; [unrolled: 1-line block ×3, first 2 shown]
	v_sub_f16_e32 v45, v55, v59
	v_fma_f16 v29, v26, s4, v56
	v_fma_f16 v53, v26, s5, v46
	v_sub_f16_e32 v15, v13, v14
	v_fma_f16 v14, v52, 2.0, -v16
	v_sub_f16_e32 v31, v54, v58
	v_fma_f16 v28, v55, 2.0, -v45
	v_fma_f16 v43, v43, s4, v29
	v_fma_f16 v52, v57, 2.0, -v53
	v_add_f16_e32 v50, v44, v50
	v_fma_f16 v26, v49, s5, v47
	v_fma_f16 v46, v48, s5, v30
	v_fma_f16 v13, v13, 2.0, -v15
	v_fma_f16 v17, v17, 2.0, -v22
	;; [unrolled: 1-line block ×4, first 2 shown]
	v_sub_f16_e32 v54, v32, v51
	v_fma_f16 v44, v44, 2.0, -v50
	v_fma_f16 v55, v48, s4, v26
	v_fma_f16 v56, v49, s5, v46
	v_sub_f16_e32 v46, v14, v28
	v_fma_f16 v28, v52, s2, v21
	v_fma_f16 v32, v32, 2.0, -v54
	v_fma_f16 v49, v47, 2.0, -v55
	;; [unrolled: 1-line block ×3, first 2 shown]
	v_sub_f16_e32 v26, v13, v27
	v_fma_f16 v27, v29, s2, v17
	v_fma_f16 v47, v29, s8, v28
	;; [unrolled: 1-line block ×10, first 2 shown]
	v_add_f16_e32 v52, v16, v31
	v_fma_f16 v31, v43, s8, v22
	v_fma_f16 v51, v43, s9, v32
	;; [unrolled: 1-line block ×9, first 2 shown]
	v_sub_f16_e32 v30, v15, v45
	v_fma_f16 v31, v53, s2, v31
	v_fma_f16 v32, v50, s4, v32
	v_fma_f16 v50, v56, s3, v43
	v_fma_f16 v53, v55, s8, v44
	v_lshlrev_b32_e32 v45, 4, v0
	s_and_saveexec_b64 s[2:3], vcc
	s_cbranch_execz .LBB0_11
; %bb.10:
	s_movk_i32 s8, 0x700
	v_fma_f16 v17, v17, 2.0, -v27
	v_fma_f16 v21, v21, 2.0, -v47
	;; [unrolled: 1-line block ×4, first 2 shown]
	v_and_or_b32 v43, v45, s8, v40
	v_fma_f16 v36, v36, 2.0, -v29
	v_fma_f16 v37, v37, 2.0, -v49
	;; [unrolled: 1-line block ×4, first 2 shown]
	v_lshlrev_b32_e32 v43, 2, v43
	v_pack_b32_f16 v13, v13, v14
	v_pack_b32_f16 v14, v17, v21
	v_fma_f16 v22, v22, 2.0, -v31
	v_fma_f16 v23, v23, 2.0, -v51
	;; [unrolled: 1-line block ×4, first 2 shown]
	ds_write2_b32 v43, v13, v14 offset1:16
	v_pack_b32_f16 v13, v25, v33
	v_pack_b32_f16 v14, v36, v37
	v_fma_f16 v38, v38, 2.0, -v50
	v_fma_f16 v42, v42, 2.0, -v53
	;; [unrolled: 1-line block ×4, first 2 shown]
	ds_write2_b32 v43, v13, v14 offset0:32 offset1:48
	v_pack_b32_f16 v13, v15, v16
	v_pack_b32_f16 v14, v22, v23
	ds_write2_b32 v43, v13, v14 offset0:64 offset1:80
	v_pack_b32_f16 v13, v34, v35
	v_pack_b32_f16 v14, v38, v42
	s_mov_b32 s8, 0x5040100
	ds_write2_b32 v43, v13, v14 offset0:96 offset1:112
	v_perm_b32 v13, v46, v26, s8
	v_perm_b32 v14, v47, v27, s8
	ds_write2_b32 v43, v13, v14 offset0:128 offset1:144
	v_perm_b32 v13, v48, v28, s8
	v_perm_b32 v14, v49, v29, s8
	;; [unrolled: 3-line block ×4, first 2 shown]
	ds_write2_b32 v43, v13, v14 offset0:224 offset1:240
.LBB0_11:
	s_or_b64 exec, exec, s[2:3]
	v_mad_u64_u32 v[33:34], s[6:7], v0, 28, s[6:7]
	s_load_dwordx4 s[0:3], s[0:1], 0x0
	s_waitcnt lgkmcnt(0)
	s_barrier
	global_load_dwordx4 v[13:16], v[33:34], off offset:960
	global_load_dwordx3 v[21:23], v[33:34], off offset:976
	ds_read2st64_b32 v[33:34], v39 offset1:4
	ds_read2st64_b32 v[35:36], v39 offset0:8 offset1:12
	ds_read2st64_b32 v[37:38], v39 offset0:16 offset1:20
	;; [unrolled: 1-line block ×3, first 2 shown]
	v_or_b32_e32 v17, 0x400, v0
	s_waitcnt lgkmcnt(3)
	v_lshrrev_b32_e32 v44, 16, v34
	s_waitcnt lgkmcnt(2)
	v_lshrrev_b32_e32 v55, 16, v35
	v_lshrrev_b32_e32 v56, 16, v36
	s_waitcnt lgkmcnt(1)
	v_lshrrev_b32_e32 v57, 16, v37
	;; [unrolled: 3-line block ×3, first 2 shown]
	v_lshrrev_b32_e32 v60, 16, v43
	v_lshrrev_b32_e32 v25, 16, v33
	v_or_b32_e32 v64, 0x500, v0
	v_or_b32_e32 v65, 0x600, v0
	;; [unrolled: 1-line block ×3, first 2 shown]
	s_waitcnt vmcnt(1)
	v_mul_f16_sdwa v62, v34, v13 dst_sel:DWORD dst_unused:UNUSED_PAD src0_sel:DWORD src1_sel:WORD_1
	v_mul_f16_sdwa v67, v35, v14 dst_sel:DWORD dst_unused:UNUSED_PAD src0_sel:DWORD src1_sel:WORD_1
	;; [unrolled: 1-line block ×4, first 2 shown]
	s_waitcnt vmcnt(0)
	v_mul_f16_sdwa v73, v38, v21 dst_sel:DWORD dst_unused:UNUSED_PAD src0_sel:DWORD src1_sel:WORD_1
	v_mul_f16_sdwa v75, v42, v22 dst_sel:DWORD dst_unused:UNUSED_PAD src0_sel:DWORD src1_sel:WORD_1
	;; [unrolled: 1-line block ×10, first 2 shown]
	v_fma_f16 v44, v44, v13, v62
	v_fma_f16 v55, v55, v14, v67
	;; [unrolled: 1-line block ×7, first 2 shown]
	v_fma_f16 v34, v34, v13, -v61
	v_fma_f16 v35, v35, v14, -v63
	;; [unrolled: 1-line block ×7, first 2 shown]
	v_sub_f16_e32 v57, v25, v57
	v_sub_f16_e32 v59, v55, v59
	;; [unrolled: 1-line block ×8, first 2 shown]
	v_fma_f16 v25, v25, 2.0, -v57
	v_fma_f16 v55, v55, 2.0, -v59
	;; [unrolled: 1-line block ×8, first 2 shown]
	v_sub_f16_e32 v67, v37, v59
	v_add_f16_e32 v42, v57, v42
	v_sub_f16_e32 v63, v38, v60
	v_add_f16_e32 v43, v58, v43
	v_sub_f16_e32 v59, v25, v55
	v_sub_f16_e32 v62, v44, v56
	;; [unrolled: 1-line block ×3, first 2 shown]
	v_fma_f16 v55, v37, 2.0, -v67
	v_fma_f16 v57, v57, 2.0, -v42
	v_sub_f16_e32 v36, v34, v36
	v_fma_f16 v56, v38, 2.0, -v63
	v_fma_f16 v38, v58, 2.0, -v43
	;; [unrolled: 1-line block ×6, first 2 shown]
	v_fma_f16 v58, v56, s4, v55
	v_fma_f16 v60, v38, s4, v57
	v_sub_f16_e32 v61, v25, v44
	v_sub_f16_e32 v37, v33, v34
	v_fma_f16 v38, v38, s4, v58
	v_fma_f16 v56, v56, s5, v60
	v_fma_f16 v60, v25, 2.0, -v61
	v_sub_f16_e32 v25, v35, v62
	v_add_f16_e32 v62, v59, v36
	v_fma_f16 v36, v63, s5, v67
	v_fma_f16 v44, v43, s5, v42
	v_fma_f16 v33, v33, 2.0, -v37
	v_fma_f16 v34, v55, 2.0, -v38
	;; [unrolled: 1-line block ×3, first 2 shown]
	v_fma_f16 v58, v43, s4, v36
	v_fma_f16 v63, v63, s5, v44
	v_fma_f16 v35, v35, 2.0, -v25
	v_fma_f16 v59, v59, 2.0, -v62
	v_fma_f16 v36, v67, 2.0, -v58
	v_fma_f16 v57, v42, 2.0, -v63
	v_pack_b32_f16 v42, v33, v60
	v_pack_b32_f16 v43, v34, v55
	ds_write2st64_b32 v39, v42, v43 offset1:4
	v_pack_b32_f16 v42, v35, v59
	v_pack_b32_f16 v43, v36, v57
	ds_write2st64_b32 v39, v42, v43 offset0:8 offset1:12
	v_pack_b32_f16 v42, v37, v61
	v_pack_b32_f16 v43, v38, v56
	ds_write2st64_b32 v39, v42, v43 offset0:16 offset1:20
	;; [unrolled: 3-line block ×3, first 2 shown]
	v_lshlrev_b32_e32 v44, 2, v17
	v_lshlrev_b32_e32 v43, 2, v64
	;; [unrolled: 1-line block ×4, first 2 shown]
	s_waitcnt lgkmcnt(0)
	s_barrier
	s_and_saveexec_b64 s[4:5], vcc
	s_cbranch_execz .LBB0_13
; %bb.12:
	s_add_u32 s6, s12, 0x2000
	s_addc_u32 s7, s13, 0
	global_load_dword v67, v39, s[6:7]
	ds_read2st64_b32 v[64:65], v39 offset1:2
	s_waitcnt lgkmcnt(0)
	v_lshrrev_b32_e32 v66, 16, v64
	s_waitcnt vmcnt(0)
	v_mul_f16_sdwa v68, v66, v67 dst_sel:DWORD dst_unused:UNUSED_PAD src0_sel:DWORD src1_sel:WORD_1
	v_fma_f16 v68, v64, v67, -v68
	v_mul_f16_sdwa v64, v64, v67 dst_sel:DWORD dst_unused:UNUSED_PAD src0_sel:DWORD src1_sel:WORD_1
	v_fma_f16 v64, v66, v67, v64
	global_load_dword v67, v39, s[6:7] offset:512
	v_lshrrev_b32_e32 v66, 16, v65
	v_pack_b32_f16 v64, v68, v64
	s_waitcnt vmcnt(0)
	v_mul_f16_sdwa v68, v66, v67 dst_sel:DWORD dst_unused:UNUSED_PAD src0_sel:DWORD src1_sel:WORD_1
	v_fma_f16 v68, v65, v67, -v68
	v_mul_f16_sdwa v65, v65, v67 dst_sel:DWORD dst_unused:UNUSED_PAD src0_sel:DWORD src1_sel:WORD_1
	v_fma_f16 v65, v66, v67, v65
	global_load_dword v67, v39, s[6:7] offset:1024
	v_pack_b32_f16 v65, v68, v65
	ds_write2st64_b32 v39, v64, v65 offset1:2
	ds_read2st64_b32 v[64:65], v39 offset0:4 offset1:6
	s_waitcnt lgkmcnt(0)
	v_lshrrev_b32_e32 v66, 16, v64
	s_waitcnt vmcnt(0)
	v_mul_f16_sdwa v68, v66, v67 dst_sel:DWORD dst_unused:UNUSED_PAD src0_sel:DWORD src1_sel:WORD_1
	v_fma_f16 v68, v64, v67, -v68
	v_mul_f16_sdwa v64, v64, v67 dst_sel:DWORD dst_unused:UNUSED_PAD src0_sel:DWORD src1_sel:WORD_1
	v_fma_f16 v64, v66, v67, v64
	global_load_dword v67, v39, s[6:7] offset:1536
	v_lshrrev_b32_e32 v66, 16, v65
	v_pack_b32_f16 v64, v68, v64
	s_waitcnt vmcnt(0)
	v_mul_f16_sdwa v68, v66, v67 dst_sel:DWORD dst_unused:UNUSED_PAD src0_sel:DWORD src1_sel:WORD_1
	v_fma_f16 v68, v65, v67, -v68
	v_mul_f16_sdwa v65, v65, v67 dst_sel:DWORD dst_unused:UNUSED_PAD src0_sel:DWORD src1_sel:WORD_1
	v_fma_f16 v65, v66, v67, v65
	global_load_dword v67, v39, s[6:7] offset:2048
	v_pack_b32_f16 v65, v68, v65
	ds_write2st64_b32 v39, v64, v65 offset0:4 offset1:6
	ds_read2st64_b32 v[64:65], v39 offset0:8 offset1:10
	s_waitcnt lgkmcnt(0)
	v_lshrrev_b32_e32 v66, 16, v64
	s_waitcnt vmcnt(0)
	v_mul_f16_sdwa v68, v66, v67 dst_sel:DWORD dst_unused:UNUSED_PAD src0_sel:DWORD src1_sel:WORD_1
	v_fma_f16 v68, v64, v67, -v68
	v_mul_f16_sdwa v64, v64, v67 dst_sel:DWORD dst_unused:UNUSED_PAD src0_sel:DWORD src1_sel:WORD_1
	v_fma_f16 v64, v66, v67, v64
	global_load_dword v67, v39, s[6:7] offset:2560
	v_lshrrev_b32_e32 v66, 16, v65
	v_pack_b32_f16 v64, v68, v64
	s_waitcnt vmcnt(0)
	v_mul_f16_sdwa v68, v66, v67 dst_sel:DWORD dst_unused:UNUSED_PAD src0_sel:DWORD src1_sel:WORD_1
	v_fma_f16 v68, v65, v67, -v68
	v_mul_f16_sdwa v65, v65, v67 dst_sel:DWORD dst_unused:UNUSED_PAD src0_sel:DWORD src1_sel:WORD_1
	v_fma_f16 v65, v66, v67, v65
	global_load_dword v67, v39, s[6:7] offset:3072
	v_pack_b32_f16 v65, v68, v65
	ds_write2st64_b32 v39, v64, v65 offset0:8 offset1:10
	ds_read2st64_b32 v[64:65], v39 offset0:12 offset1:14
	s_waitcnt lgkmcnt(0)
	v_lshrrev_b32_e32 v66, 16, v64
	s_waitcnt vmcnt(0)
	v_mul_f16_sdwa v68, v66, v67 dst_sel:DWORD dst_unused:UNUSED_PAD src0_sel:DWORD src1_sel:WORD_1
	v_fma_f16 v68, v64, v67, -v68
	v_mul_f16_sdwa v64, v64, v67 dst_sel:DWORD dst_unused:UNUSED_PAD src0_sel:DWORD src1_sel:WORD_1
	v_fma_f16 v64, v66, v67, v64
	global_load_dword v67, v39, s[6:7] offset:3584
	v_lshrrev_b32_e32 v66, 16, v65
	v_pack_b32_f16 v64, v68, v64
	s_waitcnt vmcnt(0)
	v_mul_f16_sdwa v68, v66, v67 dst_sel:DWORD dst_unused:UNUSED_PAD src0_sel:DWORD src1_sel:WORD_1
	v_fma_f16 v68, v65, v67, -v68
	v_mul_f16_sdwa v65, v65, v67 dst_sel:DWORD dst_unused:UNUSED_PAD src0_sel:DWORD src1_sel:WORD_1
	v_fma_f16 v65, v66, v67, v65
	global_load_dword v67, v44, s[6:7]
	v_pack_b32_f16 v65, v68, v65
	ds_write2st64_b32 v39, v64, v65 offset0:12 offset1:14
	ds_read2st64_b32 v[64:65], v39 offset0:16 offset1:18
	s_waitcnt lgkmcnt(0)
	v_lshrrev_b32_e32 v66, 16, v64
	s_waitcnt vmcnt(0)
	v_mul_f16_sdwa v68, v66, v67 dst_sel:DWORD dst_unused:UNUSED_PAD src0_sel:DWORD src1_sel:WORD_1
	v_fma_f16 v68, v64, v67, -v68
	v_mul_f16_sdwa v64, v64, v67 dst_sel:DWORD dst_unused:UNUSED_PAD src0_sel:DWORD src1_sel:WORD_1
	v_fma_f16 v64, v66, v67, v64
	v_or_b32_e32 v67, 0x1200, v39
	global_load_dword v67, v67, s[6:7]
	v_lshrrev_b32_e32 v66, 16, v65
	v_pack_b32_f16 v64, v68, v64
	s_waitcnt vmcnt(0)
	v_mul_f16_sdwa v68, v66, v67 dst_sel:DWORD dst_unused:UNUSED_PAD src0_sel:DWORD src1_sel:WORD_1
	v_fma_f16 v68, v65, v67, -v68
	v_mul_f16_sdwa v65, v65, v67 dst_sel:DWORD dst_unused:UNUSED_PAD src0_sel:DWORD src1_sel:WORD_1
	v_fma_f16 v65, v66, v67, v65
	global_load_dword v67, v43, s[6:7]
	v_pack_b32_f16 v65, v68, v65
	ds_write2st64_b32 v39, v64, v65 offset0:16 offset1:18
	ds_read2st64_b32 v[64:65], v39 offset0:20 offset1:22
	s_waitcnt lgkmcnt(0)
	v_lshrrev_b32_e32 v66, 16, v64
	s_waitcnt vmcnt(0)
	v_mul_f16_sdwa v68, v66, v67 dst_sel:DWORD dst_unused:UNUSED_PAD src0_sel:DWORD src1_sel:WORD_1
	v_fma_f16 v68, v64, v67, -v68
	v_mul_f16_sdwa v64, v64, v67 dst_sel:DWORD dst_unused:UNUSED_PAD src0_sel:DWORD src1_sel:WORD_1
	v_fma_f16 v64, v66, v67, v64
	v_or_b32_e32 v67, 0x1600, v39
	global_load_dword v67, v67, s[6:7]
	v_lshrrev_b32_e32 v66, 16, v65
	v_pack_b32_f16 v64, v68, v64
	s_waitcnt vmcnt(0)
	v_mul_f16_sdwa v68, v66, v67 dst_sel:DWORD dst_unused:UNUSED_PAD src0_sel:DWORD src1_sel:WORD_1
	v_fma_f16 v68, v65, v67, -v68
	v_mul_f16_sdwa v65, v65, v67 dst_sel:DWORD dst_unused:UNUSED_PAD src0_sel:DWORD src1_sel:WORD_1
	v_fma_f16 v65, v66, v67, v65
	global_load_dword v67, v42, s[6:7]
	v_pack_b32_f16 v65, v68, v65
	ds_write2st64_b32 v39, v64, v65 offset0:20 offset1:22
	ds_read2st64_b32 v[64:65], v39 offset0:24 offset1:26
	s_waitcnt lgkmcnt(0)
	v_lshrrev_b32_e32 v66, 16, v64
	s_waitcnt vmcnt(0)
	v_mul_f16_sdwa v68, v66, v67 dst_sel:DWORD dst_unused:UNUSED_PAD src0_sel:DWORD src1_sel:WORD_1
	v_fma_f16 v68, v64, v67, -v68
	v_mul_f16_sdwa v64, v64, v67 dst_sel:DWORD dst_unused:UNUSED_PAD src0_sel:DWORD src1_sel:WORD_1
	v_fma_f16 v64, v66, v67, v64
	v_or_b32_e32 v67, 0x1a00, v39
	global_load_dword v67, v67, s[6:7]
	v_lshrrev_b32_e32 v66, 16, v65
	v_pack_b32_f16 v64, v68, v64
	s_waitcnt vmcnt(0)
	v_mul_f16_sdwa v68, v66, v67 dst_sel:DWORD dst_unused:UNUSED_PAD src0_sel:DWORD src1_sel:WORD_1
	v_fma_f16 v68, v65, v67, -v68
	v_mul_f16_sdwa v65, v65, v67 dst_sel:DWORD dst_unused:UNUSED_PAD src0_sel:DWORD src1_sel:WORD_1
	v_fma_f16 v65, v66, v67, v65
	global_load_dword v67, v17, s[6:7]
	v_pack_b32_f16 v65, v68, v65
	ds_write2st64_b32 v39, v64, v65 offset0:24 offset1:26
	ds_read2st64_b32 v[64:65], v39 offset0:28 offset1:30
	s_waitcnt lgkmcnt(0)
	v_lshrrev_b32_e32 v66, 16, v64
	s_waitcnt vmcnt(0)
	v_mul_f16_sdwa v68, v66, v67 dst_sel:DWORD dst_unused:UNUSED_PAD src0_sel:DWORD src1_sel:WORD_1
	v_fma_f16 v68, v64, v67, -v68
	v_mul_f16_sdwa v64, v64, v67 dst_sel:DWORD dst_unused:UNUSED_PAD src0_sel:DWORD src1_sel:WORD_1
	v_fma_f16 v64, v66, v67, v64
	v_or_b32_e32 v67, 0x1e00, v39
	global_load_dword v67, v67, s[6:7]
	v_lshrrev_b32_e32 v66, 16, v65
	v_pack_b32_f16 v64, v68, v64
	s_waitcnt vmcnt(0)
	v_mul_f16_sdwa v68, v66, v67 dst_sel:DWORD dst_unused:UNUSED_PAD src0_sel:DWORD src1_sel:WORD_1
	v_fma_f16 v68, v65, v67, -v68
	v_mul_f16_sdwa v65, v65, v67 dst_sel:DWORD dst_unused:UNUSED_PAD src0_sel:DWORD src1_sel:WORD_1
	v_fma_f16 v65, v66, v67, v65
	v_pack_b32_f16 v65, v68, v65
	ds_write2st64_b32 v39, v64, v65 offset0:28 offset1:30
.LBB0_13:
	s_or_b64 exec, exec, s[4:5]
	s_waitcnt lgkmcnt(0)
	s_barrier
	s_and_saveexec_b64 s[4:5], vcc
	s_cbranch_execz .LBB0_15
; %bb.14:
	v_or_b32_e32 v27, 0xe00, v39
	v_or_b32_e32 v29, 0x1e00, v39
	ds_read2st64_b32 v[33:34], v39 offset1:2
	ds_read2st64_b32 v[35:36], v39 offset0:4 offset1:6
	ds_read2st64_b32 v[37:38], v39 offset0:8 offset1:10
	;; [unrolled: 1-line block ×3, first 2 shown]
	ds_read_b32 v58, v27
	ds_read_b32 v50, v29
	ds_read2st64_b32 v[27:28], v39 offset0:18 offset1:20
	ds_read2st64_b32 v[29:30], v39 offset0:22 offset1:24
	;; [unrolled: 1-line block ×3, first 2 shown]
	s_waitcnt lgkmcnt(8)
	v_lshrrev_b32_e32 v60, 16, v33
	v_lshrrev_b32_e32 v55, 16, v34
	s_waitcnt lgkmcnt(7)
	v_lshrrev_b32_e32 v59, 16, v35
	v_lshrrev_b32_e32 v57, 16, v36
	;; [unrolled: 3-line block ×3, first 2 shown]
	s_waitcnt lgkmcnt(5)
	v_lshrrev_b32_e32 v62, 16, v25
	s_waitcnt lgkmcnt(4)
	v_lshrrev_b32_e32 v63, 16, v58
	v_lshrrev_b32_e32 v46, 16, v26
	s_waitcnt lgkmcnt(2)
	v_lshrrev_b32_e32 v47, 16, v27
	;; [unrolled: 3-line block ×4, first 2 shown]
	v_lshrrev_b32_e32 v54, 16, v32
	v_lshrrev_b32_e32 v53, 16, v50
.LBB0_15:
	s_or_b64 exec, exec, s[4:5]
	v_sub_f16_e32 v46, v60, v46
	v_sub_f16_e32 v52, v61, v52
	;; [unrolled: 1-line block ×5, first 2 shown]
	v_fma_f16 v60, v60, 2.0, -v46
	v_sub_f16_e32 v30, v37, v30
	v_fma_f16 v61, v61, 2.0, -v52
	v_sub_f16_e32 v28, v35, v28
	;; [unrolled: 2-line block ×3, first 2 shown]
	v_fma_f16 v62, v62, 2.0, -v54
	v_fma_f16 v33, v33, 2.0, -v26
	;; [unrolled: 1-line block ×5, first 2 shown]
	v_sub_f16_e32 v27, v34, v27
	v_sub_f16_e32 v47, v55, v47
	;; [unrolled: 1-line block ×12, first 2 shown]
	v_fma_f16 v34, v34, 2.0, -v27
	v_fma_f16 v55, v55, 2.0, -v47
	;; [unrolled: 1-line block ×8, first 2 shown]
	v_sub_f16_e32 v37, v33, v37
	v_fma_f16 v60, v60, 2.0, -v61
	v_add_f16_e32 v52, v52, v26
	v_fma_f16 v46, v46, 2.0, -v30
	v_sub_f16_e32 v25, v35, v25
	v_fma_f16 v59, v59, 2.0, -v62
	v_add_f16_e32 v54, v54, v28
	v_fma_f16 v48, v48, 2.0, -v32
	s_mov_b32 s4, 0xb9a8
	v_fma_f16 v33, v33, 2.0, -v37
	v_fma_f16 v26, v26, 2.0, -v52
	;; [unrolled: 1-line block ×4, first 2 shown]
	v_sub_f16_e32 v38, v34, v38
	v_sub_f16_e32 v56, v55, v56
	v_add_f16_e32 v51, v51, v27
	v_sub_f16_e32 v31, v47, v31
	v_sub_f16_e32 v58, v36, v58
	;; [unrolled: 1-line block ×3, first 2 shown]
	v_add_f16_e32 v53, v53, v29
	v_sub_f16_e32 v50, v49, v50
	v_sub_f16_e32 v59, v60, v59
	v_fma_f16 v65, v48, s4, v46
	s_movk_i32 s5, 0x39a8
	v_fma_f16 v34, v34, 2.0, -v38
	v_fma_f16 v55, v55, 2.0, -v56
	;; [unrolled: 1-line block ×8, first 2 shown]
	v_sub_f16_e32 v64, v33, v35
	v_fma_f16 v35, v60, 2.0, -v59
	v_fma_f16 v60, v28, s4, v26
	v_fma_f16 v65, v28, s4, v65
	;; [unrolled: 1-line block ×4, first 2 shown]
	v_fma_f16 v48, v46, 2.0, -v65
	v_sub_f16_e32 v67, v61, v25
	v_fma_f16 v25, v54, s5, v52
	v_fma_f16 v69, v54, s4, v28
	v_sub_f16_e32 v70, v34, v36
	v_sub_f16_e32 v36, v55, v57
	v_fma_f16 v28, v29, s4, v27
	v_fma_f16 v46, v49, s4, v47
	;; [unrolled: 1-line block ×3, first 2 shown]
	v_fma_f16 v25, v34, 2.0, -v70
	v_fma_f16 v34, v55, 2.0, -v36
	v_fma_f16 v55, v49, s5, v28
	v_fma_f16 v57, v29, s4, v46
	v_fma_f16 v28, v53, s5, v51
	v_fma_f16 v46, v50, s5, v31
	v_fma_f16 v33, v33, 2.0, -v64
	v_fma_f16 v26, v26, 2.0, -v60
	;; [unrolled: 1-line block ×3, first 2 shown]
	v_sub_f16_e32 v58, v56, v58
	v_fma_f16 v71, v50, s5, v28
	v_fma_f16 v72, v53, s4, v46
	s_mov_b32 s6, 0xbb64
	v_add_f16_e32 v66, v62, v37
	v_fma_f16 v61, v61, 2.0, -v67
	v_fma_f16 v29, v47, 2.0, -v57
	v_add_f16_e32 v63, v63, v38
	v_fma_f16 v54, v56, 2.0, -v58
	v_fma_f16 v50, v51, 2.0, -v71
	;; [unrolled: 1-line block ×3, first 2 shown]
	v_sub_f16_e32 v28, v33, v25
	v_fma_f16 v31, v27, s6, v26
	s_movk_i32 s7, 0x361f
	v_fma_f16 v37, v37, 2.0, -v66
	v_fma_f16 v30, v30, 2.0, -v69
	v_fma_f16 v38, v38, 2.0, -v63
	v_sub_f16_e32 v49, v35, v34
	v_fma_f16 v25, v33, 2.0, -v28
	v_fma_f16 v34, v29, s6, v48
	v_fma_f16 v33, v29, s7, v31
	s_mov_b32 s8, 0xb61f
	v_fma_f16 v29, v54, s4, v61
	v_fma_f16 v32, v52, 2.0, -v68
	v_fma_f16 v52, v27, s8, v34
	v_fma_f16 v27, v38, s4, v37
	;; [unrolled: 1-line block ×7, first 2 shown]
	v_fma_f16 v46, v35, 2.0, -v49
	v_fma_f16 v35, v51, s9, v27
	v_fma_f16 v50, v30, 2.0, -v56
	v_fma_f16 v27, v55, s7, v60
	v_fma_f16 v30, v57, s7, v65
	v_fma_f16 v31, v37, 2.0, -v34
	v_sub_f16_e32 v53, v59, v70
	v_fma_f16 v37, v57, s9, v27
	v_fma_f16 v57, v55, s6, v30
	;; [unrolled: 1-line block ×3, first 2 shown]
	v_fma_f16 v47, v48, 2.0, -v52
	v_fma_f16 v48, v59, 2.0, -v53
	v_fma_f16 v27, v63, s5, v66
	v_fma_f16 v63, v63, s4, v55
	;; [unrolled: 1-line block ×4, first 2 shown]
	v_add_f16_e32 v36, v36, v64
	v_fma_f16 v30, v60, 2.0, -v37
	v_fma_f16 v38, v58, s5, v27
	v_fma_f16 v58, v72, s7, v55
	;; [unrolled: 1-line block ×3, first 2 shown]
	v_fma_f16 v26, v26, 2.0, -v33
	v_fma_f16 v54, v61, 2.0, -v62
	;; [unrolled: 1-line block ×9, first 2 shown]
	s_barrier
	s_and_saveexec_b64 s[4:5], vcc
	s_cbranch_execz .LBB0_17
; %bb.16:
	s_mov_b32 s6, 0x5040100
	v_perm_b32 v67, v50, v32, s6
	v_perm_b32 v66, v54, v31, s6
	;; [unrolled: 1-line block ×4, first 2 shown]
	ds_write_b128 v41, v[64:67]
	v_perm_b32 v67, v59, v55, s6
	v_perm_b32 v66, v61, v27, s6
	v_perm_b32 v65, v51, v30, s6
	v_perm_b32 v64, v48, v29, s6
	ds_write_b128 v41, v[64:67] offset:16
	v_perm_b32 v67, v56, v35, s6
	v_perm_b32 v66, v62, v34, s6
	v_perm_b32 v65, v52, v33, s6
	v_perm_b32 v64, v49, v28, s6
	ds_write_b128 v41, v[64:67] offset:32
	;; [unrolled: 5-line block ×3, first 2 shown]
.LBB0_17:
	s_or_b64 exec, exec, s[4:5]
	s_waitcnt lgkmcnt(0)
	s_barrier
	s_and_saveexec_b64 s[4:5], vcc
	s_cbranch_execz .LBB0_19
; %bb.18:
	v_or_b32_e32 v33, 0xe00, v39
	v_or_b32_e32 v35, 0x1e00, v39
	ds_read2st64_b32 v[25:26], v39 offset1:2
	ds_read2st64_b32 v[31:32], v39 offset0:4 offset1:6
	ds_read2st64_b32 v[29:30], v39 offset0:8 offset1:10
	;; [unrolled: 1-line block ×3, first 2 shown]
	ds_read_b32 v55, v33
	ds_read_b32 v58, v35
	ds_read2st64_b32 v[33:34], v39 offset0:18 offset1:20
	ds_read2st64_b32 v[35:36], v39 offset0:22 offset1:24
	;; [unrolled: 1-line block ×3, first 2 shown]
	s_waitcnt lgkmcnt(8)
	v_lshrrev_b32_e32 v46, 16, v25
	v_lshrrev_b32_e32 v47, 16, v26
	s_waitcnt lgkmcnt(7)
	v_lshrrev_b32_e32 v54, 16, v31
	v_lshrrev_b32_e32 v50, 16, v32
	s_waitcnt lgkmcnt(6)
	v_lshrrev_b32_e32 v48, 16, v29
	v_lshrrev_b32_e32 v51, 16, v30
	s_waitcnt lgkmcnt(5)
	v_lshrrev_b32_e32 v61, 16, v27
	s_waitcnt lgkmcnt(4)
	v_lshrrev_b32_e32 v59, 16, v55
	v_lshrrev_b32_e32 v49, 16, v28
	s_waitcnt lgkmcnt(2)
	v_lshrrev_b32_e32 v52, 16, v33
	;; [unrolled: 3-line block ×4, first 2 shown]
	v_lshrrev_b32_e32 v63, 16, v38
	v_lshrrev_b32_e32 v60, 16, v58
.LBB0_19:
	s_or_b64 exec, exec, s[4:5]
	s_barrier
	s_and_saveexec_b64 s[4:5], vcc
	s_cbranch_execz .LBB0_21
; %bb.20:
	v_mul_f16_sdwa v65, v6, v61 dst_sel:DWORD dst_unused:UNUSED_PAD src0_sel:WORD_1 src1_sel:DWORD
	v_fma_f16 v65, v6, v27, v65
	v_mul_f16_sdwa v27, v6, v27 dst_sel:DWORD dst_unused:UNUSED_PAD src0_sel:WORD_1 src1_sel:DWORD
	v_mul_f16_sdwa v66, v19, v63 dst_sel:DWORD dst_unused:UNUSED_PAD src0_sel:WORD_1 src1_sel:DWORD
	v_fma_f16 v6, v6, v61, -v27
	v_mul_f16_sdwa v27, v19, v38 dst_sel:DWORD dst_unused:UNUSED_PAD src0_sel:WORD_1 src1_sel:DWORD
	v_mul_f16_sdwa v73, v5, v51 dst_sel:DWORD dst_unused:UNUSED_PAD src0_sel:WORD_1 src1_sel:DWORD
	;; [unrolled: 1-line block ×4, first 2 shown]
	v_fma_f16 v66, v19, v38, v66
	v_fma_f16 v19, v19, v63, -v27
	v_mul_f16_sdwa v27, v2, v54 dst_sel:DWORD dst_unused:UNUSED_PAD src0_sel:WORD_1 src1_sel:DWORD
	v_mul_f16_sdwa v38, v8, v49 dst_sel:DWORD dst_unused:UNUSED_PAD src0_sel:WORD_1 src1_sel:DWORD
	v_fma_f16 v73, v5, v30, v73
	v_mul_f16_sdwa v30, v5, v30 dst_sel:DWORD dst_unused:UNUSED_PAD src0_sel:WORD_1 src1_sel:DWORD
	v_fma_f16 v41, v2, v54, -v41
	v_fma_f16 v64, v10, v62, -v64
	v_fma_f16 v2, v2, v31, v27
	v_mul_f16_sdwa v27, v10, v62 dst_sel:DWORD dst_unused:UNUSED_PAD src0_sel:WORD_1 src1_sel:DWORD
	v_fma_f16 v38, v8, v28, v38
	v_mul_f16_sdwa v62, v3, v32 dst_sel:DWORD dst_unused:UNUSED_PAD src0_sel:WORD_1 src1_sel:DWORD
	v_mul_f16_sdwa v68, v7, v59 dst_sel:DWORD dst_unused:UNUSED_PAD src0_sel:WORD_1 src1_sel:DWORD
	v_mul_f16_sdwa v74, v18, v57 dst_sel:DWORD dst_unused:UNUSED_PAD src0_sel:WORD_1 src1_sel:DWORD
	v_fma_f16 v5, v5, v51, -v30
	v_mul_f16_sdwa v30, v18, v37 dst_sel:DWORD dst_unused:UNUSED_PAD src0_sel:WORD_1 src1_sel:DWORD
	v_mul_f16_sdwa v28, v8, v28 dst_sel:DWORD dst_unused:UNUSED_PAD src0_sel:WORD_1 src1_sel:DWORD
	;; [unrolled: 1-line block ×3, first 2 shown]
	v_fma_f16 v62, v3, v50, -v62
	v_fma_f16 v68, v7, v55, v68
	v_mul_f16_sdwa v71, v1, v26 dst_sel:DWORD dst_unused:UNUSED_PAD src0_sel:WORD_1 src1_sel:DWORD
	v_fma_f16 v74, v18, v37, v74
	v_mul_f16_sdwa v55, v7, v55 dst_sel:DWORD dst_unused:UNUSED_PAD src0_sel:WORD_1 src1_sel:DWORD
	v_mul_f16_sdwa v50, v3, v50 dst_sel:DWORD dst_unused:UNUSED_PAD src0_sel:WORD_1 src1_sel:DWORD
	v_fma_f16 v18, v18, v57, -v30
	v_mul_f16_sdwa v30, v1, v47 dst_sel:DWORD dst_unused:UNUSED_PAD src0_sel:WORD_1 src1_sel:DWORD
	v_fma_f16 v8, v8, v49, -v28
	v_mul_f16_sdwa v28, v4, v48 dst_sel:DWORD dst_unused:UNUSED_PAD src0_sel:WORD_1 src1_sel:DWORD
	v_fma_f16 v10, v10, v34, v27
	v_fma_f16 v31, v4, v48, -v31
	v_mul_f16_sdwa v34, v12, v36 dst_sel:DWORD dst_unused:UNUSED_PAD src0_sel:WORD_1 src1_sel:DWORD
	v_mul_f16_sdwa v63, v11, v35 dst_sel:DWORD dst_unused:UNUSED_PAD src0_sel:WORD_1 src1_sel:DWORD
	;; [unrolled: 1-line block ×3, first 2 shown]
	v_fma_f16 v71, v1, v47, -v71
	v_mul_f16_sdwa v72, v9, v33 dst_sel:DWORD dst_unused:UNUSED_PAD src0_sel:WORD_1 src1_sel:DWORD
	v_fma_f16 v7, v7, v59, -v55
	v_mul_f16_sdwa v55, v20, v58 dst_sel:DWORD dst_unused:UNUSED_PAD src0_sel:WORD_1 src1_sel:DWORD
	v_fma_f16 v3, v3, v32, v50
	v_mul_f16_sdwa v32, v11, v56 dst_sel:DWORD dst_unused:UNUSED_PAD src0_sel:WORD_1 src1_sel:DWORD
	v_fma_f16 v1, v1, v26, v30
	;; [unrolled: 2-line block ×3, first 2 shown]
	v_mul_f16_sdwa v28, v12, v53 dst_sel:DWORD dst_unused:UNUSED_PAD src0_sel:WORD_1 src1_sel:DWORD
	v_fma_f16 v34, v12, v53, -v34
	v_fma_f16 v63, v11, v56, -v63
	v_fma_f16 v69, v20, v58, v69
	v_fma_f16 v72, v9, v52, -v72
	v_fma_f16 v20, v20, v60, -v55
	v_fma_f16 v11, v11, v35, v32
	v_fma_f16 v9, v9, v33, v26
	v_fma_f16 v12, v12, v36, v28
	v_sub_f16_e32 v64, v41, v64
	v_sub_f16_e32 v66, v65, v66
	v_sub_f16_e32 v19, v6, v19
	v_sub_f16_e32 v10, v2, v10
	v_sub_f16_e32 v34, v31, v34
	v_sub_f16_e32 v38, v25, v38
	v_sub_f16_e32 v63, v62, v63
	v_sub_f16_e32 v69, v68, v69
	v_sub_f16_e32 v72, v71, v72
	v_sub_f16_e32 v74, v73, v74
	v_sub_f16_e32 v20, v7, v20
	v_sub_f16_e32 v11, v3, v11
	v_sub_f16_e32 v18, v5, v18
	v_sub_f16_e32 v9, v1, v9
	v_sub_f16_e32 v8, v46, v8
	v_sub_f16_e32 v12, v4, v12
	v_sub_f16_e32 v67, v64, v66
	v_add_f16_e32 v27, v19, v10
	v_add_f16_e32 v54, v34, v38
	s_movk_i32 s6, 0x39a8
	v_sub_f16_e32 v70, v63, v69
	v_sub_f16_e32 v75, v72, v74
	v_add_f16_e32 v32, v20, v11
	v_add_f16_e32 v26, v18, v9
	v_sub_f16_e32 v28, v8, v12
	v_fma_f16 v41, v41, 2.0, -v64
	v_fma_f16 v6, v6, 2.0, -v19
	;; [unrolled: 1-line block ×8, first 2 shown]
	v_fma_f16 v61, v27, s6, v54
	v_fma_f16 v76, v70, s6, v75
	s_mov_b32 s7, 0xb9a8
	v_fma_f16 v30, v32, s6, v26
	v_fma_f16 v29, v67, s6, v28
	v_sub_f16_e32 v6, v41, v6
	v_sub_f16_e32 v4, v19, v4
	v_fma_f16 v25, v71, 2.0, -v72
	v_fma_f16 v5, v5, 2.0, -v18
	;; [unrolled: 1-line block ×4, first 2 shown]
	v_sub_f16_e32 v7, v49, v7
	v_sub_f16_e32 v20, v1, v20
	v_fma_f16 v61, v67, s6, v61
	v_fma_f16 v35, v32, s7, v76
	;; [unrolled: 1-line block ×3, first 2 shown]
	s_movk_i32 s8, 0x3b64
	v_fma_f16 v29, v27, s7, v29
	v_add_f16_e32 v12, v6, v4
	v_sub_f16_e32 v5, v25, v5
	v_sub_f16_e32 v18, v3, v18
	v_add_f16_e32 v50, v7, v20
	v_fma_f16 v33, v30, s8, v61
	s_movk_i32 s9, 0x361f
	v_fma_f16 v36, v35, s8, v29
	s_mov_b32 s10, 0xb61f
	v_sub_f16_e32 v48, v5, v18
	v_fma_f16 v51, v50, s6, v12
	v_fma_f16 v46, v46, 2.0, -v8
	v_fma_f16 v31, v31, 2.0, -v34
	;; [unrolled: 1-line block ×6, first 2 shown]
	v_fma_f16 v33, v35, s9, v33
	v_fma_f16 v36, v30, s10, v36
	;; [unrolled: 1-line block ×3, first 2 shown]
	v_sub_f16_e32 v31, v46, v31
	v_sub_f16_e32 v34, v2, v34
	v_fma_f16 v38, v38, 2.0, -v54
	v_fma_f16 v10, v10, 2.0, -v27
	v_fma_f16 v60, v59, s7, v58
	v_fma_f16 v11, v11, 2.0, -v32
	v_fma_f16 v9, v9, 2.0, -v26
	;; [unrolled: 1-line block ×7, first 2 shown]
	v_sub_f16_e32 v53, v31, v34
	v_fma_f16 v57, v64, 2.0, -v67
	v_fma_f16 v27, v10, s7, v38
	v_fma_f16 v32, v11, s7, v60
	;; [unrolled: 1-line block ×3, first 2 shown]
	s_mov_b32 s11, 0xbb64
	v_fma_f16 v19, v19, 2.0, -v4
	v_fma_f16 v54, v54, 2.0, -v61
	;; [unrolled: 1-line block ×3, first 2 shown]
	v_fma_f16 v29, v35, s10, v28
	v_fma_f16 v4, v4, 2.0, -v12
	v_fma_f16 v12, v20, 2.0, -v50
	v_fma_f16 v27, v57, s6, v27
	v_fma_f16 v11, v59, s6, v11
	;; [unrolled: 1-line block ×3, first 2 shown]
	v_fma_f16 v25, v25, 2.0, -v5
	v_fma_f16 v1, v1, 2.0, -v20
	v_fma_f16 v30, v26, s10, v54
	v_fma_f16 v26, v26, s11, v29
	v_fma_f16 v5, v5, 2.0, -v48
	v_fma_f16 v20, v12, s7, v4
	v_fma_f16 v29, v31, 2.0, -v53
	v_fma_f16 v59, v11, s9, v27
	v_fma_f16 v10, v10, s7, v57
	v_fma_f16 v2, v2, 2.0, -v34
	v_fma_f16 v7, v49, 2.0, -v7
	;; [unrolled: 1-line block ×5, first 2 shown]
	v_fma_f16 v20, v5, s6, v20
	v_fma_f16 v5, v5, s7, v29
	;; [unrolled: 1-line block ×4, first 2 shown]
	v_sub_f16_e32 v2, v19, v2
	v_sub_f16_e32 v7, v25, v7
	;; [unrolled: 1-line block ×4, first 2 shown]
	v_fma_f16 v5, v12, s7, v5
	v_fma_f16 v60, v27, 2.0, -v59
	v_fma_f16 v57, v11, s11, v57
	v_add_f16_e32 v34, v2, v7
	v_sub_f16_e32 v18, v6, v3
	v_fma_f16 v12, v29, 2.0, -v5
	v_fma_f16 v27, v38, 2.0, -v27
	;; [unrolled: 1-line block ×8, first 2 shown]
	v_fma_f16 v11, v9, s11, v27
	v_fma_f16 v10, v29, s11, v8
	v_fma_f16 v2, v19, 2.0, -v2
	v_fma_f16 v1, v1, 2.0, -v3
	;; [unrolled: 1-line block ×4, first 2 shown]
	v_fma_f16 v55, v48, s6, v53
	v_fma_f16 v11, v29, s9, v11
	;; [unrolled: 1-line block ×3, first 2 shown]
	v_sub_f16_e32 v1, v2, v1
	v_sub_f16_e32 v6, v3, v6
	s_movk_i32 s6, 0x700
	v_fma_f16 v30, v35, s8, v30
	v_fma_f16 v27, v27, 2.0, -v11
	v_fma_f16 v8, v8, 2.0, -v9
	;; [unrolled: 1-line block ×4, first 2 shown]
	v_and_or_b32 v7, v45, s6, v40
	v_fma_f16 v54, v54, 2.0, -v30
	v_fma_f16 v28, v28, 2.0, -v26
	v_fma_f16 v4, v4, 2.0, -v20
	v_lshlrev_b32_e32 v7, 2, v7
	v_pack_b32_f16 v2, v2, v3
	v_pack_b32_f16 v3, v27, v8
	v_fma_f16 v55, v50, s7, v55
	ds_write2_b32 v7, v2, v3 offset1:16
	v_pack_b32_f16 v2, v4, v12
	v_pack_b32_f16 v3, v54, v28
	v_fma_f16 v37, v61, 2.0, -v33
	v_fma_f16 v56, v53, 2.0, -v55
	ds_write2_b32 v7, v2, v3 offset0:32 offset1:48
	v_pack_b32_f16 v2, v49, v41
	v_pack_b32_f16 v3, v60, v62
	ds_write2_b32 v7, v2, v3 offset0:64 offset1:80
	v_pack_b32_f16 v2, v52, v56
	v_pack_b32_f16 v3, v37, v47
	ds_write2_b32 v7, v2, v3 offset0:96 offset1:112
	v_pack_b32_f16 v1, v1, v6
	v_pack_b32_f16 v2, v11, v9
	ds_write2_b32 v7, v1, v2 offset0:128 offset1:144
	v_pack_b32_f16 v1, v20, v5
	v_pack_b32_f16 v2, v30, v26
	ds_write2_b32 v7, v1, v2 offset0:160 offset1:176
	v_pack_b32_f16 v1, v34, v18
	v_pack_b32_f16 v2, v59, v57
	ds_write2_b32 v7, v1, v2 offset0:192 offset1:208
	v_pack_b32_f16 v1, v51, v55
	v_pack_b32_f16 v2, v33, v36
	ds_write2_b32 v7, v1, v2 offset0:224 offset1:240
.LBB0_21:
	s_or_b64 exec, exec, s[4:5]
	s_waitcnt lgkmcnt(0)
	s_barrier
	ds_read2st64_b32 v[1:2], v39 offset1:4
	ds_read2st64_b32 v[3:4], v39 offset0:8 offset1:12
	ds_read2st64_b32 v[5:6], v39 offset0:16 offset1:20
	;; [unrolled: 1-line block ×3, first 2 shown]
	s_mov_b32 s4, 0xb9a8
	s_waitcnt lgkmcnt(3)
	v_lshrrev_b32_e32 v10, 16, v2
	v_mul_f16_sdwa v26, v13, v10 dst_sel:DWORD dst_unused:UNUSED_PAD src0_sel:WORD_1 src1_sel:DWORD
	s_waitcnt lgkmcnt(2)
	v_lshrrev_b32_e32 v11, 16, v3
	v_fma_f16 v26, v13, v2, v26
	v_mul_f16_sdwa v2, v13, v2 dst_sel:DWORD dst_unused:UNUSED_PAD src0_sel:WORD_1 src1_sel:DWORD
	v_fma_f16 v2, v13, v10, -v2
	v_mul_f16_sdwa v10, v14, v11 dst_sel:DWORD dst_unused:UNUSED_PAD src0_sel:WORD_1 src1_sel:DWORD
	v_lshrrev_b32_e32 v12, 16, v4
	v_fma_f16 v10, v14, v3, v10
	v_mul_f16_sdwa v3, v14, v3 dst_sel:DWORD dst_unused:UNUSED_PAD src0_sel:WORD_1 src1_sel:DWORD
	v_fma_f16 v3, v14, v11, -v3
	v_mul_f16_sdwa v11, v15, v12 dst_sel:DWORD dst_unused:UNUSED_PAD src0_sel:WORD_1 src1_sel:DWORD
	s_waitcnt lgkmcnt(1)
	v_lshrrev_b32_e32 v18, 16, v5
	v_lshrrev_b32_e32 v19, 16, v6
	s_waitcnt lgkmcnt(0)
	v_lshrrev_b32_e32 v20, 16, v7
	v_lshrrev_b32_e32 v25, 16, v8
	v_fma_f16 v11, v15, v4, v11
	v_mul_f16_sdwa v4, v15, v4 dst_sel:DWORD dst_unused:UNUSED_PAD src0_sel:WORD_1 src1_sel:DWORD
	v_fma_f16 v4, v15, v12, -v4
	v_mul_f16_sdwa v12, v16, v18 dst_sel:DWORD dst_unused:UNUSED_PAD src0_sel:WORD_1 src1_sel:DWORD
	v_mul_f16_sdwa v13, v21, v19 dst_sel:DWORD dst_unused:UNUSED_PAD src0_sel:WORD_1 src1_sel:DWORD
	;; [unrolled: 1-line block ×4, first 2 shown]
	v_fma_f16 v12, v16, v5, v12
	v_mul_f16_sdwa v5, v16, v5 dst_sel:DWORD dst_unused:UNUSED_PAD src0_sel:WORD_1 src1_sel:DWORD
	v_fma_f16 v13, v21, v6, v13
	v_mul_f16_sdwa v6, v21, v6 dst_sel:DWORD dst_unused:UNUSED_PAD src0_sel:WORD_1 src1_sel:DWORD
	;; [unrolled: 2-line block ×4, first 2 shown]
	v_lshrrev_b32_e32 v9, 16, v1
	v_fma_f16 v5, v16, v18, -v5
	v_fma_f16 v6, v21, v19, -v6
	;; [unrolled: 1-line block ×4, first 2 shown]
	v_sub_f16_e32 v12, v1, v12
	v_sub_f16_e32 v5, v9, v5
	;; [unrolled: 1-line block ×8, first 2 shown]
	v_fma_f16 v1, v1, 2.0, -v12
	v_fma_f16 v9, v9, 2.0, -v5
	;; [unrolled: 1-line block ×8, first 2 shown]
	v_add_f16_e32 v7, v12, v7
	v_sub_f16_e32 v14, v5, v14
	v_add_f16_e32 v8, v13, v8
	v_sub_f16_e32 v15, v6, v15
	v_sub_f16_e32 v10, v1, v10
	;; [unrolled: 1-line block ×3, first 2 shown]
	v_fma_f16 v12, v12, 2.0, -v7
	v_fma_f16 v5, v5, 2.0, -v14
	v_sub_f16_e32 v11, v16, v11
	v_sub_f16_e32 v4, v2, v4
	v_fma_f16 v13, v13, 2.0, -v8
	v_fma_f16 v6, v6, 2.0, -v15
	;; [unrolled: 1-line block ×6, first 2 shown]
	v_fma_f16 v18, v13, s4, v12
	v_fma_f16 v19, v6, s4, v5
	s_movk_i32 s5, 0x39a8
	v_sub_f16_e32 v16, v1, v16
	v_sub_f16_e32 v2, v9, v2
	v_fma_f16 v6, v6, s5, v18
	v_fma_f16 v13, v13, s4, v19
	v_fma_f16 v18, v8, s5, v7
	v_fma_f16 v19, v15, s5, v14
	v_fma_f16 v1, v1, 2.0, -v16
	v_fma_f16 v9, v9, 2.0, -v2
	;; [unrolled: 1-line block ×4, first 2 shown]
	v_add_f16_e32 v4, v10, v4
	v_sub_f16_e32 v11, v3, v11
	v_fma_f16 v15, v15, s5, v18
	v_fma_f16 v8, v8, s4, v19
	v_fma_f16 v10, v10, 2.0, -v4
	v_fma_f16 v3, v3, 2.0, -v11
	v_fma_f16 v7, v7, 2.0, -v15
	v_fma_f16 v14, v14, 2.0, -v8
	v_pack_b32_f16 v1, v1, v9
	v_pack_b32_f16 v5, v12, v5
	ds_write2st64_b32 v39, v1, v5 offset1:4
	v_pack_b32_f16 v1, v10, v3
	v_pack_b32_f16 v3, v7, v14
	ds_write2st64_b32 v39, v1, v3 offset0:8 offset1:12
	v_pack_b32_f16 v1, v16, v2
	v_pack_b32_f16 v2, v6, v13
	ds_write2st64_b32 v39, v1, v2 offset0:16 offset1:20
	;; [unrolled: 3-line block ×3, first 2 shown]
	s_waitcnt lgkmcnt(0)
	s_barrier
	s_and_b64 exec, exec, vcc
	s_cbranch_execz .LBB0_23
; %bb.22:
	global_load_dword v18, v39, s[12:13]
	global_load_dword v19, v39, s[12:13] offset:512
	global_load_dword v20, v39, s[12:13] offset:1024
	;; [unrolled: 1-line block ×3, first 2 shown]
	ds_read2st64_b32 v[3:4], v39 offset1:2
	ds_read2st64_b32 v[7:8], v39 offset0:4 offset1:6
	global_load_dword v25, v39, s[12:13] offset:2048
	global_load_dword v26, v39, s[12:13] offset:2560
	;; [unrolled: 1-line block ×4, first 2 shown]
	v_mad_u64_u32 v[1:2], s[4:5], s2, v24, 0
	v_mad_u64_u32 v[5:6], s[4:5], s0, v0, 0
	v_or_b32_e32 v16, 0x80, v0
	v_mad_u64_u32 v[9:10], s[6:7], s0, v16, 0
	s_waitcnt lgkmcnt(1)
	v_mad_u64_u32 v[13:14], s[6:7], s3, v24, v[2:3]
	s_waitcnt lgkmcnt(0)
	v_mad_u64_u32 v[14:15], s[6:7], s1, v0, v[6:7]
	v_mov_b32_e32 v2, v10
	v_mad_u64_u32 v[15:16], s[6:7], s1, v16, v[2:3]
	v_mov_b32_e32 v2, v13
	v_lshlrev_b64 v[1:2], 2, v[1:2]
	v_mov_b32_e32 v6, v14
	v_mov_b32_e32 v22, s15
	v_lshlrev_b64 v[5:6], 2, v[5:6]
	v_add_co_u32_e32 v13, vcc, s14, v1
	v_mov_b32_e32 v10, v15
	v_addc_co_u32_e32 v14, vcc, v22, v2, vcc
	v_or_b32_e32 v23, 0x180, v0
	v_lshrrev_b32_e32 v24, 16, v3
	v_lshlrev_b64 v[9:10], 2, v[9:10]
	v_add_co_u32_e32 v1, vcc, v13, v5
	v_mad_u64_u32 v[11:12], s[6:7], s0, v23, 0
	v_lshrrev_b32_e32 v30, 16, v4
	v_lshrrev_b32_e32 v31, 16, v7
	v_addc_co_u32_e32 v2, vcc, v14, v6, vcc
	s_movk_i32 s2, 0x1000
	v_add_co_u32_e32 v5, vcc, v13, v9
	s_lshl_b64 s[4:5], s[0:1], 10
	v_addc_co_u32_e32 v6, vcc, v14, v10, vcc
	v_mov_b32_e32 v29, s5
	v_add_co_u32_e32 v9, vcc, s4, v1
	v_addc_co_u32_e32 v10, vcc, v2, v29, vcc
	v_lshrrev_b32_e32 v32, 16, v8
	s_waitcnt vmcnt(7)
	v_mul_f16_sdwa v15, v24, v18 dst_sel:DWORD dst_unused:UNUSED_PAD src0_sel:DWORD src1_sel:WORD_1
	v_mul_f16_sdwa v16, v3, v18 dst_sel:DWORD dst_unused:UNUSED_PAD src0_sel:DWORD src1_sel:WORD_1
	s_waitcnt vmcnt(6)
	v_mul_f16_sdwa v22, v30, v19 dst_sel:DWORD dst_unused:UNUSED_PAD src0_sel:DWORD src1_sel:WORD_1
	v_mul_f16_sdwa v33, v4, v19 dst_sel:DWORD dst_unused:UNUSED_PAD src0_sel:DWORD src1_sel:WORD_1
	;; [unrolled: 3-line block ×3, first 2 shown]
	v_fma_f16 v3, v3, v18, v15
	v_fma_f16 v15, v18, v24, -v16
	v_fma_f16 v4, v4, v19, v22
	v_fma_f16 v16, v19, v30, -v33
	;; [unrolled: 2-line block ×3, first 2 shown]
	v_mul_f16_e32 v3, 0x1000, v3
	v_mul_f16_sdwa v15, v15, s2 dst_sel:WORD_1 dst_unused:UNUSED_PAD src0_sel:DWORD src1_sel:DWORD
	v_mul_f16_e32 v4, 0x1000, v4
	v_mul_f16_sdwa v16, v16, s2 dst_sel:WORD_1 dst_unused:UNUSED_PAD src0_sel:DWORD src1_sel:DWORD
	;; [unrolled: 2-line block ×3, first 2 shown]
	v_or_b32_e32 v3, v15, v3
	v_or_b32_e32 v4, v16, v4
	;; [unrolled: 1-line block ×3, first 2 shown]
	global_store_dword v[1:2], v3, off
	global_store_dword v[5:6], v4, off
	;; [unrolled: 1-line block ×3, first 2 shown]
	v_mov_b32_e32 v1, v12
	v_mad_u64_u32 v[1:2], s[6:7], s1, v23, v[1:2]
	s_waitcnt vmcnt(7)
	v_mul_f16_sdwa v36, v32, v21 dst_sel:DWORD dst_unused:UNUSED_PAD src0_sel:DWORD src1_sel:WORD_1
	v_mul_f16_sdwa v2, v8, v21 dst_sel:DWORD dst_unused:UNUSED_PAD src0_sel:DWORD src1_sel:WORD_1
	v_fma_f16 v19, v8, v21, v36
	v_fma_f16 v2, v21, v32, -v2
	v_mul_f16_e32 v3, 0x1000, v19
	v_mul_f16_sdwa v2, v2, s2 dst_sel:WORD_1 dst_unused:UNUSED_PAD src0_sel:DWORD src1_sel:DWORD
	v_mov_b32_e32 v12, v1
	v_or_b32_e32 v5, v2, v3
	ds_read2st64_b32 v[3:4], v39 offset0:8 offset1:10
	v_lshlrev_b64 v[1:2], 2, v[11:12]
	global_load_dword v8, v44, s[12:13]
	v_add_co_u32_e32 v1, vcc, v13, v1
	v_addc_co_u32_e32 v2, vcc, v14, v2, vcc
	global_store_dword v[1:2], v5, off
	s_waitcnt lgkmcnt(0)
	v_lshrrev_b32_e32 v1, 16, v3
	s_waitcnt vmcnt(8)
	v_mul_f16_sdwa v2, v1, v25 dst_sel:DWORD dst_unused:UNUSED_PAD src0_sel:DWORD src1_sel:WORD_1
	v_fma_f16 v2, v3, v25, v2
	v_mul_f16_sdwa v3, v3, v25 dst_sel:DWORD dst_unused:UNUSED_PAD src0_sel:DWORD src1_sel:WORD_1
	v_fma_f16 v1, v25, v1, -v3
	v_mul_f16_e32 v2, 0x1000, v2
	v_mul_f16_sdwa v1, v1, s2 dst_sel:WORD_1 dst_unused:UNUSED_PAD src0_sel:DWORD src1_sel:DWORD
	v_or_b32_e32 v3, v1, v2
	v_add_co_u32_e32 v1, vcc, s4, v9
	v_or_b32_e32 v7, 0x280, v0
	v_addc_co_u32_e32 v2, vcc, v10, v29, vcc
	v_mad_u64_u32 v[5:6], s[6:7], s0, v7, 0
	v_or_b32_e32 v10, 0x480, v0
	v_lshrrev_b32_e32 v9, 16, v4
	v_lshlrev_b32_e32 v11, 2, v10
	global_store_dword v[1:2], v3, off
	s_waitcnt vmcnt(8)
	v_mul_f16_sdwa v3, v9, v26 dst_sel:DWORD dst_unused:UNUSED_PAD src0_sel:DWORD src1_sel:WORD_1
	global_load_dword v11, v11, s[12:13]
	v_fma_f16 v3, v4, v26, v3
	v_mul_f16_e32 v12, 0x1000, v3
	v_mov_b32_e32 v3, v6
	v_mad_u64_u32 v[6:7], s[6:7], s1, v7, v[3:4]
	v_mul_f16_sdwa v3, v4, v26 dst_sel:DWORD dst_unused:UNUSED_PAD src0_sel:DWORD src1_sel:WORD_1
	v_fma_f16 v3, v26, v9, -v3
	v_mul_f16_sdwa v3, v3, s2 dst_sel:WORD_1 dst_unused:UNUSED_PAD src0_sel:DWORD src1_sel:DWORD
	v_or_b32_e32 v7, v3, v12
	v_lshlrev_b64 v[3:4], 2, v[5:6]
	ds_read2st64_b32 v[5:6], v39 offset0:12 offset1:14
	v_add_co_u32_e32 v3, vcc, v13, v3
	v_addc_co_u32_e32 v4, vcc, v14, v4, vcc
	global_store_dword v[3:4], v7, off
	global_load_dword v7, v43, s[12:13]
	s_waitcnt lgkmcnt(0)
	v_lshrrev_b32_e32 v3, 16, v5
	s_waitcnt vmcnt(10)
	v_mul_f16_sdwa v4, v3, v27 dst_sel:DWORD dst_unused:UNUSED_PAD src0_sel:DWORD src1_sel:WORD_1
	v_fma_f16 v4, v5, v27, v4
	v_mul_f16_sdwa v5, v5, v27 dst_sel:DWORD dst_unused:UNUSED_PAD src0_sel:DWORD src1_sel:WORD_1
	v_fma_f16 v3, v27, v3, -v5
	v_mul_f16_e32 v4, 0x1000, v4
	v_mul_f16_sdwa v3, v3, s2 dst_sel:WORD_1 dst_unused:UNUSED_PAD src0_sel:DWORD src1_sel:DWORD
	v_add_co_u32_e32 v1, vcc, s4, v1
	v_or_b32_e32 v3, v3, v4
	v_addc_co_u32_e32 v2, vcc, v2, v29, vcc
	v_or_b32_e32 v9, 0x580, v0
	global_store_dword v[1:2], v3, off
	v_lshlrev_b32_e32 v3, 2, v9
	global_load_dword v12, v3, s[12:13]
	v_or_b32_e32 v5, 0x380, v0
	v_mad_u64_u32 v[3:4], s[6:7], s0, v5, 0
	v_lshrrev_b32_e32 v15, 16, v6
	s_waitcnt vmcnt(11)
	v_mul_f16_sdwa v16, v15, v28 dst_sel:DWORD dst_unused:UNUSED_PAD src0_sel:DWORD src1_sel:WORD_1
	v_mad_u64_u32 v[4:5], s[6:7], s1, v5, v[4:5]
	v_mul_f16_sdwa v5, v6, v28 dst_sel:DWORD dst_unused:UNUSED_PAD src0_sel:DWORD src1_sel:WORD_1
	v_fma_f16 v16, v6, v28, v16
	v_fma_f16 v5, v28, v15, -v5
	v_mul_f16_e32 v16, 0x1000, v16
	v_mul_f16_sdwa v5, v5, s2 dst_sel:WORD_1 dst_unused:UNUSED_PAD src0_sel:DWORD src1_sel:DWORD
	v_or_b32_e32 v15, v5, v16
	global_load_dword v16, v42, s[12:13]
	v_lshlrev_b64 v[3:4], 2, v[3:4]
	ds_read2st64_b32 v[5:6], v39 offset0:16 offset1:18
	v_add_co_u32_e32 v3, vcc, v13, v3
	v_addc_co_u32_e32 v4, vcc, v14, v4, vcc
	global_store_dword v[3:4], v15, off
	v_or_b32_e32 v15, 0x680, v0
	v_lshlrev_b32_e32 v4, 2, v15
	global_load_dword v18, v4, s[12:13]
	global_load_dword v19, v17, s[12:13]
	v_or_b32_e32 v17, 0x780, v0
	v_lshlrev_b32_e32 v0, 2, v17
	global_load_dword v20, v0, s[12:13]
	s_waitcnt lgkmcnt(0)
	v_lshrrev_b32_e32 v3, 16, v5
	s_waitcnt vmcnt(12)
	v_mul_f16_sdwa v0, v3, v8 dst_sel:DWORD dst_unused:UNUSED_PAD src0_sel:DWORD src1_sel:WORD_1
	v_mul_f16_sdwa v4, v5, v8 dst_sel:DWORD dst_unused:UNUSED_PAD src0_sel:DWORD src1_sel:WORD_1
	v_fma_f16 v0, v5, v8, v0
	v_fma_f16 v3, v8, v3, -v4
	v_mul_f16_e32 v0, 0x1000, v0
	v_mul_f16_sdwa v3, v3, s2 dst_sel:WORD_1 dst_unused:UNUSED_PAD src0_sel:DWORD src1_sel:DWORD
	v_or_b32_e32 v3, v3, v0
	v_add_co_u32_e32 v0, vcc, s4, v1
	v_addc_co_u32_e32 v1, vcc, v2, v29, vcc
	global_store_dword v[0:1], v3, off
	v_mad_u64_u32 v[2:3], s[6:7], s0, v10, 0
	v_lshrrev_b32_e32 v5, 16, v6
	s_waitcnt vmcnt(10)
	v_mul_f16_sdwa v4, v5, v11 dst_sel:DWORD dst_unused:UNUSED_PAD src0_sel:DWORD src1_sel:WORD_1
	v_fma_f16 v4, v6, v11, v4
	v_mul_f16_e32 v8, 0x1000, v4
	v_mad_u64_u32 v[3:4], s[6:7], s1, v10, v[3:4]
	v_mul_f16_sdwa v4, v6, v11 dst_sel:DWORD dst_unused:UNUSED_PAD src0_sel:DWORD src1_sel:WORD_1
	v_fma_f16 v4, v11, v5, -v4
	v_mul_f16_sdwa v4, v4, s2 dst_sel:WORD_1 dst_unused:UNUSED_PAD src0_sel:DWORD src1_sel:DWORD
	v_or_b32_e32 v6, v4, v8
	ds_read2st64_b32 v[4:5], v39 offset0:20 offset1:22
	v_lshlrev_b64 v[2:3], 2, v[2:3]
	v_add_co_u32_e32 v2, vcc, v13, v2
	v_addc_co_u32_e32 v3, vcc, v14, v3, vcc
	global_store_dword v[2:3], v6, off
	s_waitcnt lgkmcnt(0)
	v_lshrrev_b32_e32 v2, 16, v4
	s_waitcnt vmcnt(9)
	v_mul_f16_sdwa v3, v2, v7 dst_sel:DWORD dst_unused:UNUSED_PAD src0_sel:DWORD src1_sel:WORD_1
	v_fma_f16 v3, v4, v7, v3
	v_mul_f16_sdwa v4, v4, v7 dst_sel:DWORD dst_unused:UNUSED_PAD src0_sel:DWORD src1_sel:WORD_1
	v_fma_f16 v2, v7, v2, -v4
	v_mul_f16_e32 v3, 0x1000, v3
	v_mul_f16_sdwa v2, v2, s2 dst_sel:WORD_1 dst_unused:UNUSED_PAD src0_sel:DWORD src1_sel:DWORD
	v_add_co_u32_e32 v0, vcc, s4, v0
	v_or_b32_e32 v2, v2, v3
	v_addc_co_u32_e32 v1, vcc, v1, v29, vcc
	global_store_dword v[0:1], v2, off
	v_mad_u64_u32 v[2:3], s[6:7], s0, v9, 0
	v_lshrrev_b32_e32 v6, 16, v5
	s_waitcnt vmcnt(8)
	v_mul_f16_sdwa v4, v6, v12 dst_sel:DWORD dst_unused:UNUSED_PAD src0_sel:DWORD src1_sel:WORD_1
	v_fma_f16 v4, v5, v12, v4
	v_mul_f16_e32 v7, 0x1000, v4
	v_mad_u64_u32 v[3:4], s[6:7], s1, v9, v[3:4]
	v_mul_f16_sdwa v4, v5, v12 dst_sel:DWORD dst_unused:UNUSED_PAD src0_sel:DWORD src1_sel:WORD_1
	v_fma_f16 v4, v12, v6, -v4
	v_mul_f16_sdwa v4, v4, s2 dst_sel:WORD_1 dst_unused:UNUSED_PAD src0_sel:DWORD src1_sel:DWORD
	v_or_b32_e32 v6, v4, v7
	ds_read2st64_b32 v[4:5], v39 offset0:24 offset1:26
	v_lshlrev_b64 v[2:3], 2, v[2:3]
	v_add_co_u32_e32 v2, vcc, v13, v2
	v_addc_co_u32_e32 v3, vcc, v14, v3, vcc
	global_store_dword v[2:3], v6, off
	s_waitcnt lgkmcnt(0)
	v_lshrrev_b32_e32 v2, 16, v4
	s_waitcnt vmcnt(8)
	v_mul_f16_sdwa v3, v2, v16 dst_sel:DWORD dst_unused:UNUSED_PAD src0_sel:DWORD src1_sel:WORD_1
	v_fma_f16 v3, v4, v16, v3
	v_mul_f16_sdwa v4, v4, v16 dst_sel:DWORD dst_unused:UNUSED_PAD src0_sel:DWORD src1_sel:WORD_1
	v_fma_f16 v2, v16, v2, -v4
	v_mul_f16_e32 v3, 0x1000, v3
	v_mul_f16_sdwa v2, v2, s2 dst_sel:WORD_1 dst_unused:UNUSED_PAD src0_sel:DWORD src1_sel:DWORD
	v_add_co_u32_e32 v0, vcc, s4, v0
	v_or_b32_e32 v2, v2, v3
	;; [unrolled: 29-line block ×3, first 2 shown]
	v_addc_co_u32_e32 v1, vcc, v1, v29, vcc
	global_store_dword v[0:1], v2, off
	v_mad_u64_u32 v[0:1], s[4:5], s0, v17, 0
	v_lshrrev_b32_e32 v3, 16, v5
	s_waitcnt vmcnt(7)
	v_mul_f16_sdwa v2, v3, v20 dst_sel:DWORD dst_unused:UNUSED_PAD src0_sel:DWORD src1_sel:WORD_1
	v_fma_f16 v2, v5, v20, v2
	v_mul_f16_e32 v4, 0x1000, v2
	v_mad_u64_u32 v[1:2], s[0:1], s1, v17, v[1:2]
	v_mul_f16_sdwa v2, v5, v20 dst_sel:DWORD dst_unused:UNUSED_PAD src0_sel:DWORD src1_sel:WORD_1
	v_fma_f16 v2, v20, v3, -v2
	v_lshlrev_b64 v[0:1], 2, v[0:1]
	v_mul_f16_sdwa v2, v2, s2 dst_sel:WORD_1 dst_unused:UNUSED_PAD src0_sel:DWORD src1_sel:DWORD
	v_add_co_u32_e32 v0, vcc, v13, v0
	v_or_b32_e32 v2, v2, v4
	v_addc_co_u32_e32 v1, vcc, v14, v1, vcc
	global_store_dword v[0:1], v2, off
.LBB0_23:
	s_endpgm
	.section	.rodata,"a",@progbits
	.p2align	6, 0x0
	.amdhsa_kernel bluestein_single_back_len2048_dim1_half_op_CI_CI
		.amdhsa_group_segment_fixed_size 8192
		.amdhsa_private_segment_fixed_size 0
		.amdhsa_kernarg_size 104
		.amdhsa_user_sgpr_count 6
		.amdhsa_user_sgpr_private_segment_buffer 1
		.amdhsa_user_sgpr_dispatch_ptr 0
		.amdhsa_user_sgpr_queue_ptr 0
		.amdhsa_user_sgpr_kernarg_segment_ptr 1
		.amdhsa_user_sgpr_dispatch_id 0
		.amdhsa_user_sgpr_flat_scratch_init 0
		.amdhsa_user_sgpr_private_segment_size 0
		.amdhsa_uses_dynamic_stack 0
		.amdhsa_system_sgpr_private_segment_wavefront_offset 0
		.amdhsa_system_sgpr_workgroup_id_x 1
		.amdhsa_system_sgpr_workgroup_id_y 0
		.amdhsa_system_sgpr_workgroup_id_z 0
		.amdhsa_system_sgpr_workgroup_info 0
		.amdhsa_system_vgpr_workitem_id 0
		.amdhsa_next_free_vgpr 78
		.amdhsa_next_free_sgpr 16
		.amdhsa_reserve_vcc 1
		.amdhsa_reserve_flat_scratch 0
		.amdhsa_float_round_mode_32 0
		.amdhsa_float_round_mode_16_64 0
		.amdhsa_float_denorm_mode_32 3
		.amdhsa_float_denorm_mode_16_64 3
		.amdhsa_dx10_clamp 1
		.amdhsa_ieee_mode 1
		.amdhsa_fp16_overflow 0
		.amdhsa_exception_fp_ieee_invalid_op 0
		.amdhsa_exception_fp_denorm_src 0
		.amdhsa_exception_fp_ieee_div_zero 0
		.amdhsa_exception_fp_ieee_overflow 0
		.amdhsa_exception_fp_ieee_underflow 0
		.amdhsa_exception_fp_ieee_inexact 0
		.amdhsa_exception_int_div_zero 0
	.end_amdhsa_kernel
	.text
.Lfunc_end0:
	.size	bluestein_single_back_len2048_dim1_half_op_CI_CI, .Lfunc_end0-bluestein_single_back_len2048_dim1_half_op_CI_CI
                                        ; -- End function
	.section	.AMDGPU.csdata,"",@progbits
; Kernel info:
; codeLenInByte = 13124
; NumSgprs: 20
; NumVgprs: 78
; ScratchSize: 0
; MemoryBound: 0
; FloatMode: 240
; IeeeMode: 1
; LDSByteSize: 8192 bytes/workgroup (compile time only)
; SGPRBlocks: 2
; VGPRBlocks: 19
; NumSGPRsForWavesPerEU: 20
; NumVGPRsForWavesPerEU: 78
; Occupancy: 3
; WaveLimiterHint : 1
; COMPUTE_PGM_RSRC2:SCRATCH_EN: 0
; COMPUTE_PGM_RSRC2:USER_SGPR: 6
; COMPUTE_PGM_RSRC2:TRAP_HANDLER: 0
; COMPUTE_PGM_RSRC2:TGID_X_EN: 1
; COMPUTE_PGM_RSRC2:TGID_Y_EN: 0
; COMPUTE_PGM_RSRC2:TGID_Z_EN: 0
; COMPUTE_PGM_RSRC2:TIDIG_COMP_CNT: 0
	.type	__hip_cuid_186422569413faa4,@object ; @__hip_cuid_186422569413faa4
	.section	.bss,"aw",@nobits
	.globl	__hip_cuid_186422569413faa4
__hip_cuid_186422569413faa4:
	.byte	0                               ; 0x0
	.size	__hip_cuid_186422569413faa4, 1

	.ident	"AMD clang version 19.0.0git (https://github.com/RadeonOpenCompute/llvm-project roc-6.4.0 25133 c7fe45cf4b819c5991fe208aaa96edf142730f1d)"
	.section	".note.GNU-stack","",@progbits
	.addrsig
	.addrsig_sym __hip_cuid_186422569413faa4
	.amdgpu_metadata
---
amdhsa.kernels:
  - .args:
      - .actual_access:  read_only
        .address_space:  global
        .offset:         0
        .size:           8
        .value_kind:     global_buffer
      - .actual_access:  read_only
        .address_space:  global
        .offset:         8
        .size:           8
        .value_kind:     global_buffer
      - .actual_access:  read_only
        .address_space:  global
        .offset:         16
        .size:           8
        .value_kind:     global_buffer
      - .actual_access:  read_only
        .address_space:  global
        .offset:         24
        .size:           8
        .value_kind:     global_buffer
      - .actual_access:  read_only
        .address_space:  global
        .offset:         32
        .size:           8
        .value_kind:     global_buffer
      - .offset:         40
        .size:           8
        .value_kind:     by_value
      - .address_space:  global
        .offset:         48
        .size:           8
        .value_kind:     global_buffer
      - .address_space:  global
        .offset:         56
        .size:           8
        .value_kind:     global_buffer
      - .address_space:  global
        .offset:         64
        .size:           8
        .value_kind:     global_buffer
      - .address_space:  global
        .offset:         72
        .size:           8
        .value_kind:     global_buffer
      - .offset:         80
        .size:           4
        .value_kind:     by_value
      - .address_space:  global
        .offset:         88
        .size:           8
        .value_kind:     global_buffer
      - .address_space:  global
        .offset:         96
        .size:           8
        .value_kind:     global_buffer
    .group_segment_fixed_size: 8192
    .kernarg_segment_align: 8
    .kernarg_segment_size: 104
    .language:       OpenCL C
    .language_version:
      - 2
      - 0
    .max_flat_workgroup_size: 256
    .name:           bluestein_single_back_len2048_dim1_half_op_CI_CI
    .private_segment_fixed_size: 0
    .sgpr_count:     20
    .sgpr_spill_count: 0
    .symbol:         bluestein_single_back_len2048_dim1_half_op_CI_CI.kd
    .uniform_work_group_size: 1
    .uses_dynamic_stack: false
    .vgpr_count:     78
    .vgpr_spill_count: 0
    .wavefront_size: 64
amdhsa.target:   amdgcn-amd-amdhsa--gfx906
amdhsa.version:
  - 1
  - 2
...

	.end_amdgpu_metadata
